;; amdgpu-corpus repo=ROCm/rccl kind=compiled arch=gfx1250 opt=O3
	.amdgcn_target "amdgcn-amd-amdhsa--gfx1250"
	.amdhsa_code_object_version 6
	.text
	.p2align	2                               ; -- Begin function _ZN12_GLOBAL__N_17runRingI6__half10FuncMinMaxIS1_E7ProtoLLLi0ELi1ELi0EEEviiP15ncclDevWorkColl
	.type	_ZN12_GLOBAL__N_17runRingI6__half10FuncMinMaxIS1_E7ProtoLLLi0ELi1ELi0EEEviiP15ncclDevWorkColl,@function
_ZN12_GLOBAL__N_17runRingI6__half10FuncMinMaxIS1_E7ProtoLLLi0ELi1ELi0EEEviiP15ncclDevWorkColl: ; @_ZN12_GLOBAL__N_17runRingI6__half10FuncMinMaxIS1_E7ProtoLLLi0ELi1ELi0EEEviiP15ncclDevWorkColl
; %bb.0:
	s_wait_loadcnt_dscnt 0x0
	s_wait_kmcnt 0x0
	s_clause 0x15
	scratch_store_b32 off, v40, s32 offset:84
	; meta instruction
	scratch_store_b32 off, v41, s32 offset:80
	; meta instruction
	;; [unrolled: 2-line block ×21, first 2 shown]
	scratch_store_b32 off, v77, s32
	s_trap 2
	s_clause 0x2
	flat_load_b32 v12, v[2:3]
	flat_load_b128 v[4:7], v[2:3] offset:72
	flat_load_b64 v[70:71], v[2:3] offset:88
	v_mov_b32_e32 v20, v1
	ds_load_b32 v8, v0
	ds_load_b64 v[22:23], v0
	s_mov_b32 s0, exec_lo
                                        ; implicit-def: $vgpr18_vgpr19
                                        ; implicit-def: $vgpr24_vgpr25
	s_wait_dscnt 0x1
	v_readfirstlane_b32 s14, v8
	s_wait_loadcnt 0x2
	v_bfe_u32 v9, v12, 8, 8
	v_bitop3_b32 v1, v12, 0xff, v12 bitop3:0x3f
	s_delay_alu instid0(VALU_DEP_1) | instskip(NEXT) | instid1(VALU_DEP_1)
	v_add_nc_u32_e32 v10, v9, v1
	v_ashrrev_i32_e32 v11, 31, v10
	s_wait_loadcnt 0x1
	s_delay_alu instid0(VALU_DEP_1) | instskip(SKIP_2) | instid1(VALU_DEP_1)
	v_mul_u64_e32 v[68:69], v[6:7], v[10:11]
	v_and_b32_e32 v10, 0xff, v12
	s_wait_xcnt 0x0
	v_cmpx_ne_u32_e64 v8, v10
	s_xor_b32 s0, exec_lo, s0
	s_cbranch_execz .LBB0_6
; %bb.1:
	s_mov_b32 s1, exec_lo
                                        ; implicit-def: $vgpr18_vgpr19
                                        ; implicit-def: $vgpr24_vgpr25
	v_cmpx_ne_u32_e64 v8, v9
	s_xor_b32 s1, exec_lo, s1
	s_cbranch_execz .LBB0_3
; %bb.2:
	flat_load_b64 v[10:11], v[2:3] offset:96
	v_add_nc_u32_e32 v1, v8, v1
	s_delay_alu instid0(VALU_DEP_1) | instskip(NEXT) | instid1(VALU_DEP_1)
	v_mad_nc_u64_u32 v[24:25], v6, v1, v[4:5]
	v_mad_u32 v8, v7, v1, v25
	v_ashrrev_i32_e32 v1, 31, v1
	s_delay_alu instid0(VALU_DEP_1)
	v_mad_u32 v25, v6, v1, v8
	s_wait_loadcnt_dscnt 0x0
	v_lshrrev_b64 v[18:19], 18, v[10:11]
.LBB0_3:
	s_wait_xcnt 0x0
	s_and_not1_saveexec_b32 s1, s1
	s_cbranch_execz .LBB0_5
; %bb.4:
	flat_load_b32 v1, v[2:3] offset:100
	v_add_nc_u64_e32 v[24:25], v[68:69], v[4:5]
	s_wait_loadcnt 0x1
	v_mov_b64_e32 v[6:7], v[70:71]
	s_wait_loadcnt_dscnt 0x0
	v_lshrrev_b32_e32 v18, 7, v1
.LBB0_5:
	s_wait_xcnt 0x0
	s_or_b32 exec_lo, exec_lo, s1
.LBB0_6:
	s_and_not1_saveexec_b32 s0, s0
	s_cbranch_execz .LBB0_8
; %bb.7:
	flat_load_b64 v[6:7], v[2:3] offset:96
	v_mov_b64_e32 v[24:25], 0
	s_wait_loadcnt_dscnt 0x0
	v_lshlrev_b64_e32 v[18:19], 3, v[6:7]
	v_mov_b64_e32 v[6:7], v[4:5]
.LBB0_8:
	s_wait_xcnt 0x0
	s_or_b32 exec_lo, exec_lo, s0
	s_load_b32 s0, s[8:9], 0x0
	s_clause 0x2
	flat_load_b64 v[84:85], v[2:3] offset:104
	flat_load_u16 v13, v[2:3] offset:8
	flat_load_b32 v12, v[2:3] offset:4
	s_bfe_u32 s1, ttmp6, 0x4000c
	s_and_b32 s2, ttmp6, 15
	s_add_co_i32 s1, s1, 1
	s_getreg_b32 s3, hwreg(HW_REG_IB_STS2, 6, 4)
	s_mul_i32 s1, ttmp9, s1
	v_mov_b32_e32 v14, 0
	s_add_co_i32 s2, s2, s1
	s_cmp_eq_u32 s3, 0
	s_mov_b32 s1, 0
	s_cselect_b32 s2, ttmp9, s2
	v_mov_b64_e32 v[26:27], 0
	s_wait_kmcnt 0x0
	s_cmp_lt_u32 s2, s0
	s_cselect_b32 s0, 12, 18
	s_delay_alu instid0(SALU_CYCLE_1)
	s_add_nc_u64 s[2:3], s[8:9], s[0:1]
	flat_load_b128 v[8:11], v[2:3] offset:16
	global_load_u16 v1, v14, s[2:3]
	s_trap 2
	s_wait_xcnt 0x1
	ds_load_b32 v2, v0
	s_wait_dscnt 0x0
	v_cmp_gt_i32_e32 vcc_lo, 0, v2
	s_wait_xcnt 0x0
	v_readfirstlane_b32 s2, v2
	s_and_b32 vcc_lo, exec_lo, vcc_lo
	s_wait_loadcnt 0x2
	v_lshrrev_b64 v[14:15], 31, v[12:13]
	v_and_b32_e32 v12, 31, v0
	s_delay_alu instid0(VALU_DEP_1) | instskip(NEXT) | instid1(VALU_DEP_3)
	v_cmp_eq_u32_e64 s0, 0, v12
	v_and_b32_e32 v3, 3, v14
	s_delay_alu instid0(VALU_DEP_1)
	v_and_b32_e32 v13, 0xffff, v3
	s_cbranch_vccnz .LBB0_10
; %bb.9:
	s_trap 2
	ds_load_b64 v[14:15], v0
	s_mov_b32 s1, 1
	s_wait_dscnt 0x0
	v_readfirstlane_b32 s4, v14
	v_readfirstlane_b32 s5, v15
	flat_load_b64 v[2:3], v2, s[4:5] scale_offset
	s_wait_loadcnt_dscnt 0x0
	v_mad_nc_u64_u32 v[2:3], 0xa8, v13, v[2:3]
	s_clause 0x1
	flat_load_b64 v[32:33], v[2:3] offset:504
	flat_load_b64 v[34:35], v[2:3] offset:608
	v_add_nc_u64_e32 v[28:29], 0x1f8, v[2:3]
	s_wait_xcnt 0x0
	s_delay_alu instid0(VALU_DEP_1)
	v_dual_cndmask_b32 v3, 0, v29, s0 :: v_dual_cndmask_b32 v2, 0, v28, s0
	s_branch .LBB0_11
.LBB0_10:
	v_mov_b64_e32 v[28:29], 0
	v_mov_b64_e32 v[2:3], 0
                                        ; implicit-def: $vgpr34_vgpr35
                                        ; implicit-def: $vgpr32_vgpr33
.LBB0_11:
	s_trap 2
	ds_load_b32 v14, v0
	s_wait_dscnt 0x0
	v_cmp_gt_i32_e32 vcc_lo, 0, v14
	s_cbranch_vccnz .LBB0_13
; %bb.12:
	s_trap 2
	ds_load_b64 v[16:17], v0
	v_cmp_eq_u32_e32 vcc_lo, 0, v12
	s_wait_dscnt 0x0
	v_readfirstlane_b32 s4, v16
	v_readfirstlane_b32 s5, v17
	flat_load_b64 v[14:15], v14, s[4:5] scale_offset
	s_wait_loadcnt_dscnt 0x0
	v_mad_nc_u64_u32 v[26:27], 0xa8, v13, v[14:15]
	s_clause 0x1
	flat_load_b64 v[36:37], v[26:27]
	flat_load_b64 v[16:17], v[26:27] offset:104
	v_dual_cndmask_b32 v53, 0, v27 :: v_dual_cndmask_b32 v52, 0, v26
	s_branch .LBB0_14
.LBB0_13:
	v_mov_b64_e32 v[52:53], 0
                                        ; implicit-def: $vgpr16_vgpr17
                                        ; implicit-def: $vgpr36_vgpr37
.LBB0_14:
	v_subrev_nc_u32_e32 v13, 32, v20
	v_cmp_gt_u32_e32 vcc_lo, s1, v12
	v_mov_b64_e32 v[48:49], 0
	v_mov_b64_e32 v[50:51], 0
                                        ; implicit-def: $vgpr38_vgpr39
	s_delay_alu instid0(VALU_DEP_4)
	v_cmp_ge_i32_e64 s0, v0, v13
	s_and_b32 s13, s0, vcc_lo
	s_wait_xcnt 0x0
	s_and_saveexec_b32 s0, s13
	s_cbranch_execz .LBB0_16
; %bb.15:
	s_clause 0x1
	flat_load_b64 v[50:51], v[2:3] offset:56
	flat_load_b64 v[38:39], v[2:3] offset:104
.LBB0_16:
	s_wait_xcnt 0x0
	s_or_b32 exec_lo, exec_lo, s0
	v_mov_b64_e32 v[12:13], 0
	v_cmp_gt_u32_e64 s0, s1, v0
                                        ; implicit-def: $vgpr54_vgpr55
	s_and_saveexec_b32 s1, s0
	s_cbranch_execz .LBB0_18
; %bb.17:
	flat_load_b64 v[48:49], v[52:53] offset:56
	s_wait_loadcnt_dscnt 0x0
	flat_load_b64 v[54:55], v[48:49] scope:SCOPE_SYS
	s_wait_loadcnt 0x0
	flat_load_b128 v[12:15], v[52:53] offset:96
.LBB0_18:
	s_wait_xcnt 0x0
	s_or_b32 exec_lo, exec_lo, s1
	v_mov_b64_e32 v[64:65], 0
	s_wait_loadcnt 0x0
	v_and_b32_e32 v113, 0xffff, v1
	s_mov_b32 s16, exec_lo
	v_cmpx_ne_u64_e32 0, v[6:7]
	s_cbranch_execnz .LBB0_34
; %bb.19:
	s_or_b32 exec_lo, exec_lo, s16
	s_and_saveexec_b32 s1, s13
	s_cbranch_execnz .LBB0_312
.LBB0_20:
	s_or_b32 exec_lo, exec_lo, s1
	s_and_saveexec_b32 s1, s0
	s_cbranch_execz .LBB0_22
.LBB0_21:
	s_wait_dscnt 0x0
	flat_store_b64 v[26:27], v[14:15] offset:104
.LBB0_22:
	s_wait_xcnt 0x0
	s_or_b32 exec_lo, exec_lo, s1
	s_delay_alu instid0(SALU_CYCLE_1)
	s_mov_b32 s0, exec_lo
	v_cmpx_ne_u32_e32 32, v20
	s_cbranch_execz .LBB0_319
; %bb.23:
	s_mov_b32 s1, exec_lo
	v_cmpx_ne_u32_e64 v20, v113
	s_xor_b32 s1, exec_lo, s1
	s_cbranch_execz .LBB0_317
; %bb.24:
	v_and_b32_e32 v0, 31, v31
	s_mov_b32 s2, exec_lo
	s_delay_alu instid0(VALU_DEP_1)
	v_cmpx_eq_u32_e32 0, v0
	s_cbranch_execz .LBB0_316
; %bb.25:
	s_mov_b32 s4, exec_lo
	s_mov_b32 s3, exec_lo
	v_mbcnt_lo_u32_b32 v0, s4, 0
	global_wb scope:SCOPE_DEV
	s_wait_storecnt 0x0
	s_wait_loadcnt_dscnt 0x0
	global_inv scope:SCOPE_DEV
	v_cmpx_eq_u32_e32 0, v0
	s_cbranch_execz .LBB0_27
; %bb.26:
	s_bcnt1_i32_b32 s4, s4
	s_delay_alu instid0(SALU_CYCLE_1)
	v_dual_mov_b32 v1, 0 :: v_dual_mov_b32 v0, s4
	s_wait_loadcnt 0x0
	ds_add_u64 v0, v[0:1]
	s_trap 2
.LBB0_27:
	s_or_b32 exec_lo, exec_lo, s3
	s_trap 2
	ds_load_b64 v[2:3], v0
	s_wait_dscnt 0x0
	v_dual_mov_b32 v1, 0 :: v_dual_lshrrev_b32 v0, 5, v20
	s_mov_b32 s3, exec_lo
	s_delay_alu instid0(VALU_DEP_1) | instskip(NEXT) | instid1(VALU_DEP_1)
	v_add_nc_u64_e32 v[0:1], v[64:65], v[0:1]
	v_cmpx_lt_u64_e64 v[2:3], v[0:1]
	s_cbranch_execz .LBB0_315
; %bb.28:
	s_mov_b32 s4, 0
	s_mov_b32 s7, 0
                                        ; implicit-def: $sgpr5
                                        ; implicit-def: $sgpr6
	s_branch .LBB0_30
.LBB0_29:                               ;   in Loop: Header=BB0_30 Depth=1
	s_or_b32 exec_lo, exec_lo, s9
	s_delay_alu instid0(SALU_CYCLE_1) | instskip(NEXT) | instid1(SALU_CYCLE_1)
	s_and_b32 s8, exec_lo, s10
	s_or_b32 s4, s8, s4
	s_and_not1_b32 s5, s5, exec_lo
	s_and_b32 s8, s6, exec_lo
	s_delay_alu instid0(SALU_CYCLE_1)
	s_or_b32 s5, s5, s8
	s_and_not1_b32 exec_lo, exec_lo, s4
	s_cbranch_execz .LBB0_313
.LBB0_30:                               ; =>This Inner Loop Header: Depth=1
	s_add_co_i32 s7, s7, 1
	s_delay_alu instid0(SALU_CYCLE_1) | instskip(SKIP_1) | instid1(SALU_CYCLE_1)
	s_cmp_lg_u32 s7, 0x2710
	s_cselect_b32 s8, -1, 0
	s_and_b32 vcc_lo, exec_lo, s8
	s_cbranch_vccz .LBB0_32
; %bb.31:                               ;   in Loop: Header=BB0_30 Depth=1
	s_mov_b32 s10, -1
	s_or_b32 s6, s6, exec_lo
	s_and_saveexec_b32 s9, s8
	s_cbranch_execz .LBB0_29
	s_branch .LBB0_33
.LBB0_32:                               ;   in Loop: Header=BB0_30 Depth=1
	s_trap 2
	ds_load_b64 v[2:3], v0
	s_and_not1_b32 s8, s8, exec_lo
	s_mov_b32 s7, 0
	s_wait_loadcnt_dscnt 0x0
	flat_load_b32 v2, v[2:3] scope:SCOPE_SYS
	s_wait_loadcnt_dscnt 0x0
	global_inv scope:SCOPE_SYS
	v_cmp_eq_u32_e32 vcc_lo, 0, v2
	s_and_b32 s9, vcc_lo, exec_lo
	s_delay_alu instid0(SALU_CYCLE_1)
	s_or_b32 s8, s8, s9
	s_mov_b32 s10, -1
	s_or_b32 s6, s6, exec_lo
	s_and_saveexec_b32 s9, s8
	s_cbranch_execz .LBB0_29
.LBB0_33:                               ;   in Loop: Header=BB0_30 Depth=1
	s_sleep 1
	s_trap 2
	ds_load_b64 v[2:3], v0
	s_wait_dscnt 0x0
	s_and_not1_b32 s6, s6, exec_lo
	v_cmp_ge_u64_e32 vcc_lo, v[2:3], v[0:1]
	s_or_not1_b32 s10, vcc_lo, exec_lo
	s_branch .LBB0_29
.LBB0_34:
	v_add_nc_u64_e32 v[2:3], v[70:71], v[4:5]
	v_dual_mov_b32 v53, 0 :: v_dual_bitop2_b32 v1, 31, v31 bitop3:0x40
	s_ashr_i32 s1, s2, 31
	v_dual_lshlrev_b32 v52, 3, v0 :: v_dual_lshlrev_b32 v30, 2, v0
	s_lshr_b32 s1, s1, 29
	s_delay_alu instid0(VALU_DEP_3) | instskip(SKIP_4) | instid1(VALU_DEP_4)
	v_add_nc_u64_e32 v[68:69], v[2:3], v[68:69]
	v_and_b32_e32 v2, 1, v84
	v_cmp_eq_u32_e64 s5, 0, v1
	v_dual_mov_b32 v1, v53 :: v_dual_mov_b32 v3, v53
	v_mov_b32_e32 v21, v53
	v_cmp_eq_u32_e64 s6, 1, v2
	v_dual_lshlrev_b32 v19, 1, v18 :: v_dual_bitop2_b32 v2, 1, v8 bitop3:0x40
	s_add_co_i32 s2, s2, s1
	s_ashr_i32 s15, s14, 31
	v_mov_b32_e32 v83, v53
	v_lshl_add_u64 v[4:5], v[0:1], 3, v[10:11]
	v_cmp_eq_u64_e64 s8, 0, v[2:3]
	v_lshl_add_u32 v2, v24, 1, v52
	v_lshlrev_b32_e32 v3, 4, v18
	s_ashr_i32 s4, s2, 3
	s_ashr_i32 s17, s2, 7
	s_lshl_b64 s[2:3], s[14:15], 2
	v_mov_b64_e32 v[80:81], 0
	v_add_nc_u64_e32 v[70:71], s[2:3], v[22:23]
	v_cmp_ne_u64_e64 s1, 0, v[48:49]
	s_wait_dscnt 0x0
	v_cmp_ne_u64_e64 s2, 0, v[12:13]
	v_add_nc_u64_e32 v[84:85], v[10:11], v[52:53]
	v_cmp_ne_u64_e64 s7, 0, v[50:51]
	v_add_nc_u64_e32 v[8:9], v[8:9], v[52:53]
	v_lshlrev_b64_e32 v[98:99], 1, v[68:69]
	v_lshlrev_b64_e32 v[100:101], 3, v[20:21]
	;; [unrolled: 1-line block ×3, first 2 shown]
	v_mov_b64_e32 v[64:65], 0
	v_and_b32_e32 v66, 0xfffff8, v18
	v_dual_mov_b32 v67, v53 :: v_dual_lshrrev_b32 v82, 5, v20
	s_and_b32 s15, s4, -16
	v_cmp_ne_u32_e64 s3, 32, v20
	v_cmp_ne_u32_e64 s4, v20, v113
	v_lshl_add_u64 v[86:87], v[24:25], 1, v[4:5]
	v_and_b32_e32 v96, 0x1fffff0, v19
	v_dual_mov_b32 v97, v53 :: v_dual_lshlrev_b32 v58, 4, v68
	v_add_lshl_u32 v56, v2, v10, 3
	v_and_b32_e32 v57, 0xfffff80, v3
	v_dual_mov_b32 v60, 1 :: v_dual_lshlrev_b32 v59, 6, v20
	v_dual_mov_b32 v61, 0 :: v_dual_lshlrev_b32 v112, 2, v20
	v_lshl_add_u64 v[114:115], v[0:1], 4, v[36:37]
	s_cmp_gt_i32 s14, 2
	s_mov_b32 s18, 0
	s_cselect_b32 s19, -1, 0
	s_branch .LBB0_36
.LBB0_35:                               ;   in Loop: Header=BB0_36 Depth=1
	s_wait_xcnt 0x0
	s_or_b32 exec_lo, exec_lo, s9
	v_add_nc_u64_e32 v[80:81], v[80:81], v[66:67]
	v_add_nc_u64_e32 v[34:35], 1, v[34:35]
	v_add_nc_u64_e32 v[86:87], v[86:87], v[96:97]
	v_add_nc_u32_e32 v56, v56, v57
	s_delay_alu instid0(VALU_DEP_4) | instskip(SKIP_1) | instid1(SALU_CYCLE_1)
	v_cmp_ge_u64_e32 vcc_lo, v[80:81], v[6:7]
	s_or_b32 s18, vcc_lo, s18
	s_and_not1_b32 exec_lo, exec_lo, s18
	s_cbranch_execz .LBB0_311
.LBB0_36:                               ; =>This Loop Header: Depth=1
                                        ;     Child Loop BB0_41 Depth 2
                                        ;     Child Loop BB0_60 Depth 2
	;; [unrolled: 1-line block ×5, first 2 shown]
                                        ;       Child Loop BB0_90 Depth 3
                                        ;       Child Loop BB0_109 Depth 3
                                        ;       Child Loop BB0_131 Depth 3
                                        ;         Child Loop BB0_139 Depth 4
                                        ;       Child Loop BB0_201 Depth 3
                                        ;       Child Loop BB0_126 Depth 3
                                        ;     Child Loop BB0_217 Depth 2
                                        ;       Child Loop BB0_225 Depth 3
                                        ;     Child Loop BB0_299 Depth 2
	s_wait_loadcnt_dscnt 0x0
	flat_load_b32 v19, v[70:71] offset:-4
	v_sub_nc_u64_e32 v[2:3], v[6:7], v[80:81]
	s_delay_alu instid0(VALU_DEP_1) | instskip(NEXT) | instid1(VALU_DEP_1)
	v_min_u64 v[2:3], v[66:67], v[2:3]
	v_lshl_add_u32 v1, v2, 2, 12
	s_delay_alu instid0(VALU_DEP_1)
	v_and_b32_e32 v21, 0x7fffff0, v1
	s_wait_xcnt 0x0
	s_and_saveexec_b32 s10, s1
	s_cbranch_execz .LBB0_52
; %bb.37:                               ;   in Loop: Header=BB0_36 Depth=1
	v_add_nc_u64_e32 v[4:5], 1, v[14:15]
	v_add_nc_u64_e32 v[116:117], 8, v[54:55]
	s_mov_b32 s11, exec_lo
	s_delay_alu instid0(VALU_DEP_1)
	v_cmpx_lt_u64_e64 v[116:117], v[4:5]
	s_cbranch_execz .LBB0_49
; %bb.38:                               ;   in Loop: Header=BB0_36 Depth=1
	s_mov_b32 s12, 0
	s_mov_b32 s23, 0
	v_cmp_eq_u32_e32 vcc_lo, 0, v61
                                        ; implicit-def: $sgpr20
                                        ; implicit-def: $sgpr21
                                        ; implicit-def: $sgpr22
	s_branch .LBB0_41
.LBB0_39:                               ;   in Loop: Header=BB0_41 Depth=2
	s_or_b32 exec_lo, exec_lo, s28
	s_delay_alu instid0(SALU_CYCLE_1)
	s_and_not1_b32 s9, s22, exec_lo
	s_and_b32 s22, s26, exec_lo
	s_and_not1_b32 s21, s21, exec_lo
	s_and_b32 s25, s25, exec_lo
	s_or_b32 s22, s9, s22
	s_or_b32 s21, s21, s25
.LBB0_40:                               ;   in Loop: Header=BB0_41 Depth=2
	s_or_b32 exec_lo, exec_lo, s24
	s_delay_alu instid0(SALU_CYCLE_1) | instskip(NEXT) | instid1(SALU_CYCLE_1)
	s_and_b32 s9, exec_lo, s21
	s_or_b32 s12, s9, s12
	s_and_not1_b32 s9, s20, exec_lo
	s_and_b32 s20, s22, exec_lo
	s_delay_alu instid0(SALU_CYCLE_1)
	s_or_b32 s20, s9, s20
	s_and_not1_b32 exec_lo, exec_lo, s12
	s_cbranch_execz .LBB0_46
.LBB0_41:                               ;   Parent Loop BB0_36 Depth=1
                                        ; =>  This Inner Loop Header: Depth=2
	s_sleep 1
	s_wait_loadcnt_dscnt 0x0
	flat_load_b64 v[54:55], v[48:49] scope:SCOPE_DEV
	v_mov_b32_e32 v61, 1
	s_or_b32 s22, s22, exec_lo
	s_or_b32 s21, s21, exec_lo
                                        ; implicit-def: $vgpr1
	s_wait_xcnt 0x0
	s_and_saveexec_b32 s24, vcc_lo
	s_cbranch_execz .LBB0_40
; %bb.42:                               ;   in Loop: Header=BB0_41 Depth=2
	s_add_co_i32 s23, s23, 1
	s_mov_b32 s25, -1
	s_cmp_lg_u32 s23, 0x2710
	s_mov_b32 s26, -1
	s_cselect_b32 s27, -1, 0
	s_cmp_eq_u32 s23, 0x2710
                                        ; implicit-def: $vgpr1
	s_cbranch_scc1 .LBB0_44
; %bb.43:                               ;   in Loop: Header=BB0_41 Depth=2
	v_mov_b32_e32 v61, 1
	s_and_saveexec_b32 s28, s27
	s_cbranch_execz .LBB0_39
	s_branch .LBB0_45
.LBB0_44:                               ;   in Loop: Header=BB0_41 Depth=2
	s_trap 2
	ds_load_b64 v[116:117], v0
	s_and_not1_b32 s23, s27, exec_lo
	s_mov_b32 s26, 0
	s_wait_storecnt 0x0
	s_wait_loadcnt_dscnt 0x0
	flat_load_b32 v1, v[116:117] scope:SCOPE_SYS
	s_wait_loadcnt_dscnt 0x0
	global_inv scope:SCOPE_SYS
	v_cmp_eq_u32_e64 s9, 0, v1
	s_and_b32 s9, s9, exec_lo
	s_delay_alu instid0(SALU_CYCLE_1)
	s_or_b32 s27, s23, s9
	s_mov_b32 s23, 0
	v_mov_b32_e32 v61, 1
	s_and_saveexec_b32 s28, s27
	s_cbranch_execz .LBB0_39
.LBB0_45:                               ;   in Loop: Header=BB0_41 Depth=2
	s_wait_loadcnt_dscnt 0x0
	v_add_nc_u64_e32 v[116:117], 8, v[54:55]
	v_mov_b32_e32 v61, 0
	s_or_b32 s26, s26, exec_lo
	s_delay_alu instid0(VALU_DEP_2)
	v_cmp_ge_u64_e64 s9, v[116:117], v[4:5]
	s_or_not1_b32 s25, s9, exec_lo
	s_branch .LBB0_39
.LBB0_46:                               ;   in Loop: Header=BB0_36 Depth=1
	s_or_b32 exec_lo, exec_lo, s12
	s_xor_b32 s9, s20, -1
	s_delay_alu instid0(SALU_CYCLE_1) | instskip(NEXT) | instid1(SALU_CYCLE_1)
	s_and_saveexec_b32 s12, s9
	s_xor_b32 s9, exec_lo, s12
	s_cbranch_execz .LBB0_48
; %bb.47:                               ;   in Loop: Header=BB0_36 Depth=1
	v_mov_b32_e32 v61, 1
	s_wait_storecnt 0x0
	s_wait_loadcnt_dscnt 0x0
	ds_store_b32 v0, v1
	s_trap 2
.LBB0_48:                               ;   in Loop: Header=BB0_36 Depth=1
	s_or_b32 exec_lo, exec_lo, s9
.LBB0_49:                               ;   in Loop: Header=BB0_36 Depth=1
	s_delay_alu instid0(SALU_CYCLE_1)
	s_or_b32 exec_lo, exec_lo, s11
	s_and_saveexec_b32 s9, s2
	s_cbranch_execz .LBB0_51
; %bb.50:                               ;   in Loop: Header=BB0_36 Depth=1
	v_and_b32_e32 v52, 0x7ffffff8, v14
	s_delay_alu instid0(VALU_DEP_1) | instskip(SKIP_1) | instid1(VALU_DEP_1)
	v_cmp_eq_u64_e32 vcc_lo, 0x7ffffff8, v[52:53]
	v_cndmask_b32_e64 v116, v21, s15, vcc_lo
	v_dual_ashrrev_i32 v117, 31, v116 :: v_dual_bitop2_b32 v1, 7, v14 bitop3:0x40
	s_delay_alu instid0(VALU_DEP_1)
	v_mad_nc_u64_u32 v[14:15], v1, 24, v[12:13]
	flat_store_b64 v[14:15], v[116:117] offset:8 scope:SCOPE_SYS
	s_wait_storecnt 0x0
.LBB0_51:                               ;   in Loop: Header=BB0_36 Depth=1
	s_wait_xcnt 0x0
	s_or_b32 exec_lo, exec_lo, s9
	v_mov_b64_e32 v[14:15], v[4:5]
.LBB0_52:                               ;   in Loop: Header=BB0_36 Depth=1
	s_or_b32 exec_lo, exec_lo, s10
	s_and_saveexec_b32 s9, s3
	s_cbranch_execz .LBB0_71
; %bb.53:                               ;   in Loop: Header=BB0_36 Depth=1
	s_and_saveexec_b32 s10, s4
	s_delay_alu instid0(SALU_CYCLE_1)
	s_xor_b32 s10, exec_lo, s10
	s_cbranch_execz .LBB0_68
; %bb.54:                               ;   in Loop: Header=BB0_36 Depth=1
	s_and_saveexec_b32 s11, s5
	s_cbranch_execz .LBB0_67
; %bb.55:                               ;   in Loop: Header=BB0_36 Depth=1
	s_mov_b32 s20, exec_lo
	s_mov_b32 s12, exec_lo
	v_mbcnt_lo_u32_b32 v1, s20, 0
	global_wb scope:SCOPE_DEV
	s_wait_storecnt 0x0
	s_wait_loadcnt_dscnt 0x0
	global_inv scope:SCOPE_DEV
	v_cmpx_eq_u32_e32 0, v1
	s_cbranch_execz .LBB0_57
; %bb.56:                               ;   in Loop: Header=BB0_36 Depth=1
	s_bcnt1_i32_b32 s20, s20
	s_delay_alu instid0(SALU_CYCLE_1)
	v_mov_b32_e32 v52, s20
	s_wait_loadcnt 0x0
	ds_add_u64 v0, v[52:53]
	s_trap 2
.LBB0_57:                               ;   in Loop: Header=BB0_36 Depth=1
	s_or_b32 exec_lo, exec_lo, s12
	s_trap 2
	ds_load_b64 v[4:5], v0
	s_wait_dscnt 0x0
	v_add_nc_u64_e32 v[64:65], v[64:65], v[82:83]
	s_mov_b32 s12, exec_lo
	s_delay_alu instid0(VALU_DEP_1)
	v_cmpx_lt_u64_e64 v[4:5], v[64:65]
	s_cbranch_execz .LBB0_66
; %bb.58:                               ;   in Loop: Header=BB0_36 Depth=1
	s_mov_b32 s20, 0
	s_mov_b32 s23, 0
                                        ; implicit-def: $sgpr21
                                        ; implicit-def: $sgpr22
	s_branch .LBB0_60
.LBB0_59:                               ;   in Loop: Header=BB0_60 Depth=2
	s_or_b32 exec_lo, exec_lo, s25
	s_delay_alu instid0(SALU_CYCLE_1) | instskip(NEXT) | instid1(SALU_CYCLE_1)
	s_and_b32 s24, exec_lo, s26
	s_or_b32 s20, s24, s20
	s_and_not1_b32 s21, s21, exec_lo
	s_and_b32 s24, s22, exec_lo
	s_delay_alu instid0(SALU_CYCLE_1)
	s_or_b32 s21, s21, s24
	s_and_not1_b32 exec_lo, exec_lo, s20
	s_cbranch_execz .LBB0_64
.LBB0_60:                               ;   Parent Loop BB0_36 Depth=1
                                        ; =>  This Inner Loop Header: Depth=2
	s_add_co_i32 s23, s23, 1
	s_delay_alu instid0(SALU_CYCLE_1) | instskip(SKIP_1) | instid1(SALU_CYCLE_1)
	s_cmp_lg_u32 s23, 0x2710
	s_cselect_b32 s24, -1, 0
	s_and_b32 vcc_lo, exec_lo, s24
	s_cbranch_vccz .LBB0_62
; %bb.61:                               ;   in Loop: Header=BB0_60 Depth=2
	s_mov_b32 s26, -1
	s_or_b32 s22, s22, exec_lo
	s_and_saveexec_b32 s25, s24
	s_cbranch_execz .LBB0_59
	s_branch .LBB0_63
.LBB0_62:                               ;   in Loop: Header=BB0_60 Depth=2
	s_trap 2
	ds_load_b64 v[4:5], v0
	s_and_not1_b32 s24, s24, exec_lo
	s_mov_b32 s23, 0
	s_wait_loadcnt_dscnt 0x0
	flat_load_b32 v1, v[4:5] scope:SCOPE_SYS
	s_wait_loadcnt_dscnt 0x0
	global_inv scope:SCOPE_SYS
	v_cmp_eq_u32_e32 vcc_lo, 0, v1
	s_and_b32 s25, vcc_lo, exec_lo
	s_delay_alu instid0(SALU_CYCLE_1)
	s_or_b32 s24, s24, s25
	s_mov_b32 s26, -1
	s_or_b32 s22, s22, exec_lo
	s_and_saveexec_b32 s25, s24
	s_cbranch_execz .LBB0_59
.LBB0_63:                               ;   in Loop: Header=BB0_60 Depth=2
	s_sleep 1
	s_trap 2
	ds_load_b64 v[4:5], v0
	s_wait_dscnt 0x0
	s_and_not1_b32 s22, s22, exec_lo
	v_cmp_ge_u64_e32 vcc_lo, v[4:5], v[64:65]
	s_or_not1_b32 s26, vcc_lo, exec_lo
	s_branch .LBB0_59
.LBB0_64:                               ;   in Loop: Header=BB0_36 Depth=1
	s_or_b32 exec_lo, exec_lo, s20
	s_and_saveexec_b32 s20, s21
	s_delay_alu instid0(SALU_CYCLE_1)
	s_xor_b32 s20, exec_lo, s20
	s_cbranch_execz .LBB0_66
; %bb.65:                               ;   in Loop: Header=BB0_36 Depth=1
	ds_store_b32 v0, v60
	s_trap 2
.LBB0_66:                               ;   in Loop: Header=BB0_36 Depth=1
	s_or_b32 exec_lo, exec_lo, s12
	;;#ASMSTART
	s_wakeup
	;;#ASMEND
.LBB0_67:                               ;   in Loop: Header=BB0_36 Depth=1
	s_or_b32 exec_lo, exec_lo, s11
.LBB0_68:                               ;   in Loop: Header=BB0_36 Depth=1
	s_and_not1_saveexec_b32 s10, s10
	s_cbranch_execz .LBB0_70
; %bb.69:                               ;   in Loop: Header=BB0_36 Depth=1
	global_wb scope:SCOPE_DEV
	s_wait_storecnt 0x0
	s_wait_loadcnt_dscnt 0x0
	global_inv scope:SCOPE_DEV
	s_barrier_signal -1
	s_barrier_wait -1
.LBB0_70:                               ;   in Loop: Header=BB0_36 Depth=1
	s_or_b32 exec_lo, exec_lo, s10
.LBB0_71:                               ;   in Loop: Header=BB0_36 Depth=1
	s_delay_alu instid0(SALU_CYCLE_1) | instskip(SKIP_2) | instid1(VALU_DEP_2)
	s_or_b32 exec_lo, exec_lo, s9
	v_dual_sub_nc_u32 v1, v2, v30 :: v_dual_bitop2_b32 v40, 7, v16 bitop3:0x40
	v_dual_mov_b32 v18, v0 :: v_dual_add_nc_u32 v3, 1, v16
	v_cmp_lt_i32_e64 s9, 0, v1
	s_and_saveexec_b32 s10, s9
	s_cbranch_execz .LBB0_79
; %bb.72:                               ;   in Loop: Header=BB0_36 Depth=1
	s_wait_loadcnt_dscnt 0x0
	v_mad_nc_u64_u32 v[116:117], v98, v19, v[86:87]
	v_mul_lo_u32 v4, v40, s17
	v_dual_mov_b32 v41, v1 :: v_dual_ashrrev_i32 v18, 31, v19
	s_mov_b32 s11, 0
	s_delay_alu instid0(VALU_DEP_3) | instskip(NEXT) | instid1(VALU_DEP_3)
	v_mad_u32 v2, v99, v19, v117
	v_ashrrev_i32_e32 v5, 31, v4
	v_mad_u32 v19, v58, v19, v56
	s_delay_alu instid0(VALU_DEP_2) | instskip(NEXT) | instid1(VALU_DEP_4)
	v_lshl_add_u64 v[118:119], v[4:5], 4, v[114:115]
	v_mad_u32 v117, v98, v18, v2
	v_mov_b32_e32 v18, v0
	s_branch .LBB0_74
.LBB0_73:                               ;   in Loop: Header=BB0_74 Depth=2
	s_wait_xcnt 0x0
	s_or_b32 exec_lo, exec_lo, s12
	s_wait_loadcnt 0x0
	v_alignbit_b32 v2, v43, v2, v19
	v_alignbit_b32 v4, v42, v43, v19
	v_dual_mov_b32 v5, v3 :: v_dual_sub_nc_u32 v41, v41, v112
	v_add_nc_u64_e32 v[116:117], v[116:117], v[100:101]
	v_dual_add_nc_u32 v18, v18, v20 :: v_dual_add_nc_u32 v19, v19, v59
	global_store_b128 v[118:119], v[2:5], off
	v_cmp_gt_i32_e32 vcc_lo, 1, v41
	s_wait_xcnt 0x0
	v_add_nc_u64_e32 v[118:119], v[118:119], v[102:103]
	s_or_b32 s11, vcc_lo, s11
	s_delay_alu instid0(SALU_CYCLE_1)
	s_and_not1_b32 exec_lo, exec_lo, s11
	s_cbranch_execz .LBB0_78
.LBB0_74:                               ;   Parent Loop BB0_36 Depth=1
                                        ; =>  This Inner Loop Header: Depth=2
	s_delay_alu instid0(VALU_DEP_2)
	v_dual_mov_b32 v5, v117 :: v_dual_bitop2_b32 v4, -4, v116 bitop3:0x40
	v_min_u32_e32 v52, 4, v41
	v_dual_mov_b32 v43, 0 :: v_dual_bitop2_b32 v42, 3, v116 bitop3:0x40
	s_mov_b32 s12, exec_lo
	global_load_b32 v2, v[4:5], off th:TH_LOAD_NT
	v_lshl_add_u32 v52, v52, 1, v42
	v_mov_b32_e32 v42, 0
	s_wait_xcnt 0x0
	s_delay_alu instid0(VALU_DEP_2)
	v_cmpx_lt_u32_e32 4, v52
	s_cbranch_execz .LBB0_76
; %bb.75:                               ;   in Loop: Header=BB0_74 Depth=2
	global_load_b32 v43, v[4:5], off offset:4 th:TH_LOAD_NT
.LBB0_76:                               ;   in Loop: Header=BB0_74 Depth=2
	s_wait_xcnt 0x0
	s_or_b32 exec_lo, exec_lo, s12
	s_delay_alu instid0(SALU_CYCLE_1)
	s_mov_b32 s12, exec_lo
	v_cmpx_lt_u64_e32 8, v[52:53]
	s_cbranch_execz .LBB0_73
; %bb.77:                               ;   in Loop: Header=BB0_74 Depth=2
	global_load_b32 v42, v[4:5], off offset:8 th:TH_LOAD_NT
	s_branch .LBB0_73
.LBB0_78:                               ;   in Loop: Header=BB0_36 Depth=1
	s_or_b32 exec_lo, exec_lo, s11
.LBB0_79:                               ;   in Loop: Header=BB0_36 Depth=1
	s_delay_alu instid0(SALU_CYCLE_1) | instskip(SKIP_2) | instid1(VALU_DEP_2)
	s_or_b32 exec_lo, exec_lo, s10
	v_and_b32_e32 v52, 0x7ffffff8, v16
	v_cmp_gt_i32_e64 s10, s17, v18
	v_cmp_eq_u64_e32 vcc_lo, 0x7ffffff8, v[52:53]
	s_and_b32 s11, vcc_lo, s10
	s_delay_alu instid0(SALU_CYCLE_1)
	s_and_saveexec_b32 s10, s11
	s_cbranch_execz .LBB0_82
; %bb.80:                               ;   in Loop: Header=BB0_36 Depth=1
	v_mul_lo_u32 v4, v40, s17
	v_mov_b32_e32 v2, v53
	s_mov_b32 s11, 0
	s_wait_loadcnt_dscnt 0x0
	s_delay_alu instid0(VALU_DEP_2) | instskip(NEXT) | instid1(VALU_DEP_1)
	v_dual_ashrrev_i32 v19, 31, v18 :: v_dual_ashrrev_i32 v5, 31, v4
	v_lshlrev_b64_e32 v[4:5], 4, v[4:5]
	s_delay_alu instid0(VALU_DEP_1) | instskip(NEXT) | instid1(VALU_DEP_1)
	v_lshl_add_u64 v[4:5], v[18:19], 4, v[4:5]
	v_add_nc_u64_e32 v[116:117], v[36:37], v[4:5]
.LBB0_81:                               ;   Parent Loop BB0_36 Depth=1
                                        ; =>  This Inner Loop Header: Depth=2
	v_dual_mov_b32 v4, v2 :: v_dual_mov_b32 v5, v3
	v_add_nc_u32_e32 v18, v18, v20
	global_store_b128 v[116:117], v[2:5], off
	v_cmp_le_i32_e32 vcc_lo, s17, v18
	s_wait_xcnt 0x0
	v_add_nc_u64_e32 v[116:117], v[116:117], v[102:103]
	s_or_b32 s11, vcc_lo, s11
	s_delay_alu instid0(SALU_CYCLE_1)
	s_and_not1_b32 exec_lo, exec_lo, s11
	s_cbranch_execnz .LBB0_81
.LBB0_82:                               ;   in Loop: Header=BB0_36 Depth=1
	s_or_b32 exec_lo, exec_lo, s10
	v_add_nc_u64_e32 v[116:117], v[80:81], v[24:25]
	v_add_nc_u64_e32 v[118:119], 1, v[16:17]
	s_and_not1_b32 vcc_lo, exec_lo, s19
	s_cbranch_vccnz .LBB0_212
; %bb.83:                               ;   in Loop: Header=BB0_36 Depth=1
	s_delay_alu instid0(VALU_DEP_2)
	v_lshl_add_u64 v[40:41], v[116:117], 1, v[84:85]
	v_add_nc_u16 v62, v16, 1
	s_mov_b32 s20, 2
	s_branch .LBB0_85
.LBB0_84:                               ;   in Loop: Header=BB0_85 Depth=2
	s_or_b32 exec_lo, exec_lo, s10
	v_add_nc_u64_e32 v[34:35], 1, v[34:35]
	v_add_nc_u64_e32 v[118:119], 1, v[118:119]
	v_add_nc_u16 v62, v62, 1
	s_add_co_i32 s20, s20, 1
	s_delay_alu instid0(SALU_CYCLE_1)
	s_cmp_eq_u32 s20, s14
	s_cbranch_scc1 .LBB0_212
.LBB0_85:                               ;   Parent Loop BB0_36 Depth=1
                                        ; =>  This Loop Header: Depth=2
                                        ;       Child Loop BB0_90 Depth 3
                                        ;       Child Loop BB0_109 Depth 3
	;; [unrolled: 1-line block ×3, first 2 shown]
                                        ;         Child Loop BB0_139 Depth 4
                                        ;       Child Loop BB0_201 Depth 3
                                        ;       Child Loop BB0_126 Depth 3
	s_sub_co_i32 s11, s14, s20
	v_readfirstlane_b32 s10, v22
	v_mov_b32_e32 v2, s11
	v_readfirstlane_b32 s11, v23
	flat_load_b32 v4, v2, s[10:11] scale_offset
	s_wait_xcnt 0x0
	s_and_saveexec_b32 s11, s1
	s_cbranch_execz .LBB0_101
; %bb.86:                               ;   in Loop: Header=BB0_85 Depth=2
	v_add_nc_u64_e32 v[2:3], 1, v[14:15]
	s_wait_loadcnt_dscnt 0x101
	v_add_nc_u64_e32 v[16:17], 8, v[54:55]
	s_mov_b32 s12, exec_lo
	s_delay_alu instid0(VALU_DEP_1)
	v_cmpx_lt_u64_e64 v[16:17], v[2:3]
	s_cbranch_execz .LBB0_98
; %bb.87:                               ;   in Loop: Header=BB0_85 Depth=2
	s_mov_b32 s21, 0
	s_mov_b32 s25, 0
	v_cmp_eq_u32_e32 vcc_lo, 0, v61
                                        ; implicit-def: $sgpr22
                                        ; implicit-def: $sgpr23
                                        ; implicit-def: $sgpr24
	s_branch .LBB0_90
.LBB0_88:                               ;   in Loop: Header=BB0_90 Depth=3
	s_or_b32 exec_lo, exec_lo, s40
	s_delay_alu instid0(SALU_CYCLE_1)
	s_and_not1_b32 s10, s24, exec_lo
	s_and_b32 s24, s28, exec_lo
	s_and_not1_b32 s23, s23, exec_lo
	s_and_b32 s27, s27, exec_lo
	s_or_b32 s24, s10, s24
	s_or_b32 s23, s23, s27
.LBB0_89:                               ;   in Loop: Header=BB0_90 Depth=3
	s_or_b32 exec_lo, exec_lo, s26
	s_delay_alu instid0(SALU_CYCLE_1) | instskip(NEXT) | instid1(SALU_CYCLE_1)
	s_and_b32 s10, exec_lo, s23
	s_or_b32 s21, s10, s21
	s_and_not1_b32 s10, s22, exec_lo
	s_and_b32 s22, s24, exec_lo
	s_delay_alu instid0(SALU_CYCLE_1)
	s_or_b32 s22, s10, s22
	s_and_not1_b32 exec_lo, exec_lo, s21
	s_cbranch_execz .LBB0_95
.LBB0_90:                               ;   Parent Loop BB0_36 Depth=1
                                        ;     Parent Loop BB0_85 Depth=2
                                        ; =>    This Inner Loop Header: Depth=3
	s_sleep 1
	s_wait_loadcnt_dscnt 0x0
	flat_load_b64 v[54:55], v[48:49] scope:SCOPE_DEV
	v_mov_b32_e32 v61, 1
	s_or_b32 s24, s24, exec_lo
	s_or_b32 s23, s23, exec_lo
                                        ; implicit-def: $vgpr5
	s_wait_xcnt 0x0
	s_and_saveexec_b32 s26, vcc_lo
	s_cbranch_execz .LBB0_89
; %bb.91:                               ;   in Loop: Header=BB0_90 Depth=3
	s_add_co_i32 s25, s25, 1
	s_mov_b32 s27, -1
	s_cmp_lg_u32 s25, 0x2710
	s_mov_b32 s28, -1
	s_cselect_b32 s29, -1, 0
	s_cmp_eq_u32 s25, 0x2710
                                        ; implicit-def: $vgpr5
	s_cbranch_scc1 .LBB0_93
; %bb.92:                               ;   in Loop: Header=BB0_90 Depth=3
	v_mov_b32_e32 v61, 1
	s_and_saveexec_b32 s40, s29
	s_cbranch_execz .LBB0_88
	s_branch .LBB0_94
.LBB0_93:                               ;   in Loop: Header=BB0_90 Depth=3
	s_trap 2
	ds_load_b64 v[16:17], v0
	s_and_not1_b32 s25, s29, exec_lo
	s_mov_b32 s28, 0
	s_wait_storecnt 0x0
	s_wait_loadcnt_dscnt 0x0
	flat_load_b32 v5, v[16:17] scope:SCOPE_SYS
	s_wait_loadcnt_dscnt 0x0
	global_inv scope:SCOPE_SYS
	v_cmp_eq_u32_e64 s10, 0, v5
	s_and_b32 s10, s10, exec_lo
	s_delay_alu instid0(SALU_CYCLE_1)
	s_or_b32 s29, s25, s10
	s_mov_b32 s25, 0
	v_mov_b32_e32 v61, 1
	s_and_saveexec_b32 s40, s29
	s_cbranch_execz .LBB0_88
.LBB0_94:                               ;   in Loop: Header=BB0_90 Depth=3
	s_wait_loadcnt_dscnt 0x0
	v_add_nc_u64_e32 v[16:17], 8, v[54:55]
	v_mov_b32_e32 v61, 0
	s_or_b32 s28, s28, exec_lo
	s_delay_alu instid0(VALU_DEP_2)
	v_cmp_ge_u64_e64 s10, v[16:17], v[2:3]
	s_or_not1_b32 s27, s10, exec_lo
	s_branch .LBB0_88
.LBB0_95:                               ;   in Loop: Header=BB0_85 Depth=2
	s_or_b32 exec_lo, exec_lo, s21
	s_xor_b32 s10, s22, -1
	s_delay_alu instid0(SALU_CYCLE_1) | instskip(NEXT) | instid1(SALU_CYCLE_1)
	s_and_saveexec_b32 s21, s10
	s_xor_b32 s10, exec_lo, s21
	s_cbranch_execz .LBB0_97
; %bb.96:                               ;   in Loop: Header=BB0_85 Depth=2
	v_mov_b32_e32 v61, 1
	s_wait_storecnt 0x0
	s_wait_loadcnt_dscnt 0x0
	ds_store_b32 v0, v5
	s_trap 2
.LBB0_97:                               ;   in Loop: Header=BB0_85 Depth=2
	s_or_b32 exec_lo, exec_lo, s10
.LBB0_98:                               ;   in Loop: Header=BB0_85 Depth=2
	s_delay_alu instid0(SALU_CYCLE_1)
	s_or_b32 exec_lo, exec_lo, s12
	s_and_saveexec_b32 s10, s2
	s_cbranch_execz .LBB0_100
; %bb.99:                               ;   in Loop: Header=BB0_85 Depth=2
	v_and_b32_e32 v52, 0x7ffffff8, v14
	s_delay_alu instid0(VALU_DEP_1) | instskip(SKIP_1) | instid1(VALU_DEP_1)
	v_cmp_eq_u64_e32 vcc_lo, 0x7ffffff8, v[52:53]
	v_cndmask_b32_e64 v16, v21, s15, vcc_lo
	v_dual_ashrrev_i32 v17, 31, v16 :: v_dual_bitop2_b32 v5, 7, v14 bitop3:0x40
	s_delay_alu instid0(VALU_DEP_1)
	v_mad_nc_u64_u32 v[14:15], v5, 24, v[12:13]
	flat_store_b64 v[14:15], v[16:17] offset:8 scope:SCOPE_SYS
	s_wait_storecnt 0x0
.LBB0_100:                              ;   in Loop: Header=BB0_85 Depth=2
	s_wait_xcnt 0x0
	s_or_b32 exec_lo, exec_lo, s10
	v_mov_b64_e32 v[14:15], v[2:3]
.LBB0_101:                              ;   in Loop: Header=BB0_85 Depth=2
	s_or_b32 exec_lo, exec_lo, s11
	s_and_saveexec_b32 s10, s3
	s_cbranch_execz .LBB0_120
; %bb.102:                              ;   in Loop: Header=BB0_85 Depth=2
	s_and_saveexec_b32 s11, s4
	s_delay_alu instid0(SALU_CYCLE_1)
	s_xor_b32 s11, exec_lo, s11
	s_cbranch_execz .LBB0_117
; %bb.103:                              ;   in Loop: Header=BB0_85 Depth=2
	s_and_saveexec_b32 s12, s5
	s_cbranch_execz .LBB0_116
; %bb.104:                              ;   in Loop: Header=BB0_85 Depth=2
	s_mov_b32 s22, exec_lo
	s_mov_b32 s21, exec_lo
	v_mbcnt_lo_u32_b32 v2, s22, 0
	global_wb scope:SCOPE_DEV
	s_wait_storecnt 0x0
	s_wait_loadcnt_dscnt 0x0
	global_inv scope:SCOPE_DEV
	v_cmpx_eq_u32_e32 0, v2
	s_cbranch_execz .LBB0_106
; %bb.105:                              ;   in Loop: Header=BB0_85 Depth=2
	s_bcnt1_i32_b32 s22, s22
	s_delay_alu instid0(SALU_CYCLE_1)
	v_mov_b32_e32 v52, s22
	s_wait_loadcnt 0x0
	ds_add_u64 v0, v[52:53]
	s_trap 2
.LBB0_106:                              ;   in Loop: Header=BB0_85 Depth=2
	s_or_b32 exec_lo, exec_lo, s21
	s_trap 2
	ds_load_b64 v[2:3], v0
	s_wait_dscnt 0x0
	v_add_nc_u64_e32 v[64:65], v[64:65], v[82:83]
	s_mov_b32 s21, exec_lo
	s_delay_alu instid0(VALU_DEP_1)
	v_cmpx_lt_u64_e64 v[2:3], v[64:65]
	s_cbranch_execz .LBB0_115
; %bb.107:                              ;   in Loop: Header=BB0_85 Depth=2
	s_mov_b32 s22, 0
	s_mov_b32 s25, 0
                                        ; implicit-def: $sgpr23
                                        ; implicit-def: $sgpr24
	s_branch .LBB0_109
.LBB0_108:                              ;   in Loop: Header=BB0_109 Depth=3
	s_or_b32 exec_lo, exec_lo, s27
	s_delay_alu instid0(SALU_CYCLE_1) | instskip(NEXT) | instid1(SALU_CYCLE_1)
	s_and_b32 s26, exec_lo, s28
	s_or_b32 s22, s26, s22
	s_and_not1_b32 s23, s23, exec_lo
	s_and_b32 s26, s24, exec_lo
	s_delay_alu instid0(SALU_CYCLE_1)
	s_or_b32 s23, s23, s26
	s_and_not1_b32 exec_lo, exec_lo, s22
	s_cbranch_execz .LBB0_113
.LBB0_109:                              ;   Parent Loop BB0_36 Depth=1
                                        ;     Parent Loop BB0_85 Depth=2
                                        ; =>    This Inner Loop Header: Depth=3
	s_add_co_i32 s25, s25, 1
	s_delay_alu instid0(SALU_CYCLE_1) | instskip(SKIP_1) | instid1(SALU_CYCLE_1)
	s_cmp_lg_u32 s25, 0x2710
	s_cselect_b32 s26, -1, 0
	s_and_b32 vcc_lo, exec_lo, s26
	s_cbranch_vccz .LBB0_111
; %bb.110:                              ;   in Loop: Header=BB0_109 Depth=3
	s_mov_b32 s28, -1
	s_or_b32 s24, s24, exec_lo
	s_and_saveexec_b32 s27, s26
	s_cbranch_execz .LBB0_108
	s_branch .LBB0_112
.LBB0_111:                              ;   in Loop: Header=BB0_109 Depth=3
	s_trap 2
	ds_load_b64 v[2:3], v0
	s_and_not1_b32 s26, s26, exec_lo
	s_mov_b32 s25, 0
	s_wait_loadcnt_dscnt 0x0
	flat_load_b32 v2, v[2:3] scope:SCOPE_SYS
	s_wait_loadcnt_dscnt 0x0
	global_inv scope:SCOPE_SYS
	v_cmp_eq_u32_e32 vcc_lo, 0, v2
	s_and_b32 s27, vcc_lo, exec_lo
	s_delay_alu instid0(SALU_CYCLE_1)
	s_or_b32 s26, s26, s27
	s_mov_b32 s28, -1
	s_or_b32 s24, s24, exec_lo
	s_and_saveexec_b32 s27, s26
	s_cbranch_execz .LBB0_108
.LBB0_112:                              ;   in Loop: Header=BB0_109 Depth=3
	s_sleep 1
	s_trap 2
	ds_load_b64 v[2:3], v0
	s_wait_dscnt 0x0
	s_and_not1_b32 s24, s24, exec_lo
	v_cmp_ge_u64_e32 vcc_lo, v[2:3], v[64:65]
	s_or_not1_b32 s28, vcc_lo, exec_lo
	s_branch .LBB0_108
.LBB0_113:                              ;   in Loop: Header=BB0_85 Depth=2
	s_or_b32 exec_lo, exec_lo, s22
	s_and_saveexec_b32 s22, s23
	s_delay_alu instid0(SALU_CYCLE_1)
	s_xor_b32 s22, exec_lo, s22
	s_cbranch_execz .LBB0_115
; %bb.114:                              ;   in Loop: Header=BB0_85 Depth=2
	ds_store_b32 v0, v60
	s_trap 2
.LBB0_115:                              ;   in Loop: Header=BB0_85 Depth=2
	s_or_b32 exec_lo, exec_lo, s21
	;;#ASMSTART
	s_wakeup
	;;#ASMEND
.LBB0_116:                              ;   in Loop: Header=BB0_85 Depth=2
	s_or_b32 exec_lo, exec_lo, s12
.LBB0_117:                              ;   in Loop: Header=BB0_85 Depth=2
	s_and_not1_saveexec_b32 s11, s11
	s_cbranch_execz .LBB0_119
; %bb.118:                              ;   in Loop: Header=BB0_85 Depth=2
	global_wb scope:SCOPE_DEV
	s_wait_storecnt 0x0
	s_wait_loadcnt_dscnt 0x0
	global_inv scope:SCOPE_DEV
	s_barrier_signal -1
	s_barrier_wait -1
.LBB0_119:                              ;   in Loop: Header=BB0_85 Depth=2
	s_or_b32 exec_lo, exec_lo, s11
.LBB0_120:                              ;   in Loop: Header=BB0_85 Depth=2
	s_delay_alu instid0(SALU_CYCLE_1)
	s_or_b32 exec_lo, exec_lo, s10
	v_dual_mov_b32 v52, v0 :: v_dual_add_nc_u32 v3, 1, v118
	s_and_saveexec_b32 s21, s9
	s_cbranch_execnz .LBB0_127
; %bb.121:                              ;   in Loop: Header=BB0_85 Depth=2
	s_or_b32 exec_lo, exec_lo, s21
	s_and_saveexec_b32 s10, s3
	s_cbranch_execnz .LBB0_194
.LBB0_122:                              ;   in Loop: Header=BB0_85 Depth=2
	s_or_b32 exec_lo, exec_lo, s10
	s_and_saveexec_b32 s10, s7
	s_cbranch_execz .LBB0_124
.LBB0_123:                              ;   in Loop: Header=BB0_85 Depth=2
	v_add_nc_u64_e32 v[38:39], 1, v[38:39]
	global_wb scope:SCOPE_SYS
	s_wait_storecnt 0x0
	s_wait_loadcnt_dscnt 0x0
	flat_store_b64 v[50:51], v[38:39] scope:SCOPE_SYS
.LBB0_124:                              ;   in Loop: Header=BB0_85 Depth=2
	s_wait_xcnt 0x0
	s_or_b32 exec_lo, exec_lo, s10
	s_wait_loadcnt_dscnt 0x0
	v_and_b32_e32 v4, 0x7ffffff8, v118
	v_mov_b32_e32 v5, v53
	v_cmp_gt_i32_e64 s10, s17, v52
	s_delay_alu instid0(VALU_DEP_2) | instskip(SKIP_1) | instid1(SALU_CYCLE_1)
	v_cmp_eq_u64_e32 vcc_lo, 0x7ffffff8, v[4:5]
	s_and_b32 s11, vcc_lo, s10
	s_and_saveexec_b32 s10, s11
	s_cbranch_execz .LBB0_84
; %bb.125:                              ;   in Loop: Header=BB0_85 Depth=2
	v_dual_ashrrev_i32 v17, 31, v52 :: v_dual_bitop2_b32 v2, 7, v62 bitop3:0x40
	v_mov_b32_e32 v16, v52
	s_mov_b32 s11, 0
	s_delay_alu instid0(VALU_DEP_2) | instskip(NEXT) | instid1(VALU_DEP_1)
	v_mul_lo_u32 v4, s17, v2
	v_dual_mov_b32 v2, v53 :: v_dual_ashrrev_i32 v5, 31, v4
	s_delay_alu instid0(VALU_DEP_1) | instskip(NEXT) | instid1(VALU_DEP_1)
	v_lshlrev_b64_e32 v[4:5], 4, v[4:5]
	v_lshl_add_u64 v[4:5], v[16:17], 4, v[4:5]
	s_delay_alu instid0(VALU_DEP_1)
	v_add_nc_u64_e32 v[16:17], v[36:37], v[4:5]
.LBB0_126:                              ;   Parent Loop BB0_36 Depth=1
                                        ;     Parent Loop BB0_85 Depth=2
                                        ; =>    This Inner Loop Header: Depth=3
	s_delay_alu instid0(VALU_DEP_4) | instskip(SKIP_1) | instid1(VALU_DEP_2)
	v_dual_mov_b32 v4, v2 :: v_dual_add_nc_u32 v52, v52, v20
	v_mov_b32_e32 v5, v3
	v_cmp_le_i32_e32 vcc_lo, s17, v52
	global_store_b128 v[16:17], v[2:5], off
	s_wait_xcnt 0x0
	v_add_nc_u64_e32 v[16:17], v[16:17], v[102:103]
	s_or_b32 s11, vcc_lo, s11
	s_delay_alu instid0(SALU_CYCLE_1)
	s_and_not1_b32 exec_lo, exec_lo, s11
	s_cbranch_execnz .LBB0_126
	s_branch .LBB0_84
.LBB0_127:                              ;   in Loop: Header=BB0_85 Depth=2
	s_wait_loadcnt_dscnt 0x0
	v_dual_ashrrev_i32 v5, 31, v4 :: v_dual_bitop2_b32 v2, 7, v34 bitop3:0x40
	s_mov_b32 s22, 0
	v_dual_mov_b32 v63, v1 :: v_dual_mov_b32 v52, v0
	s_delay_alu instid0(VALU_DEP_2) | instskip(SKIP_3) | instid1(VALU_DEP_3)
	v_mul_u64_e32 v[16:17], v[68:69], v[4:5]
	v_and_b32_e32 v5, 7, v118
	v_mul_lo_u32 v4, v2, s17
	v_add_nc_u32_e32 v2, 1, v34
	v_mul_lo_u32 v18, v5, s17
	s_delay_alu instid0(VALU_DEP_1) | instskip(NEXT) | instid1(VALU_DEP_1)
	v_dual_ashrrev_i32 v5, 31, v4 :: v_dual_ashrrev_i32 v19, 31, v18
	v_lshl_add_u64 v[4:5], v[4:5], 4, v[32:33]
	s_delay_alu instid0(VALU_DEP_2)
	v_lshl_add_u64 v[42:43], v[18:19], 4, v[36:37]
	v_lshl_add_u64 v[44:45], v[16:17], 1, v[40:41]
	s_branch .LBB0_131
.LBB0_128:                              ;   in Loop: Header=BB0_131 Depth=3
	s_or_b32 exec_lo, exec_lo, s23
	s_delay_alu instid0(VALU_DEP_1)
	v_mov_b32_e32 v18, v47
.LBB0_129:                              ;   in Loop: Header=BB0_131 Depth=3
	s_or_b32 exec_lo, exec_lo, s24
.LBB0_130:                              ;   in Loop: Header=BB0_131 Depth=3
	s_delay_alu instid0(SALU_CYCLE_1) | instskip(SKIP_1) | instid1(VALU_DEP_2)
	s_or_b32 exec_lo, exec_lo, s12
	v_dual_mov_b32 v47, v53 :: v_dual_lshlrev_b32 v46, 1, v112
	v_dual_lshlrev_b32 v16, 16, v16 :: v_dual_lshlrev_b32 v18, 16, v18
	v_and_b32_e32 v72, 0xffff, v17
	v_and_b32_e32 v19, 0xffff, v19
	v_or3_b32 v17, 0, 0, v3
	v_sub_nc_u32_e32 v63, v63, v112
	v_add_nc_u64_e32 v[44:45], v[44:45], v[46:47]
	v_lshl_add_u64 v[46:47], v[52:53], 4, v[42:43]
	v_or3_b32 v18, v18, v19, 0
	v_mov_b32_e32 v19, v17
	v_cmp_gt_i32_e32 vcc_lo, 1, v63
	v_or3_b32 v16, v16, v72, 0
	v_add_nc_u32_e32 v52, v52, v20
	s_or_b32 s22, vcc_lo, s22
	global_store_b128 v[46:47], v[16:19], off
	s_wait_xcnt 0x0
	s_and_not1_b32 exec_lo, exec_lo, s22
	s_cbranch_execz .LBB0_193
.LBB0_131:                              ;   Parent Loop BB0_36 Depth=1
                                        ;     Parent Loop BB0_85 Depth=2
                                        ; =>    This Loop Header: Depth=3
                                        ;         Child Loop BB0_139 Depth 4
	s_delay_alu instid0(VALU_DEP_1)
	v_dual_mov_b32 v17, v45 :: v_dual_bitop2_b32 v16, -4, v44 bitop3:0x40
	v_min_u32_e32 v18, 4, v63
	v_dual_mov_b32 v72, 0 :: v_dual_bitop2_b32 v19, 3, v44 bitop3:0x40
	v_mov_b32_e32 v73, 0
	global_load_b32 v74, v[16:17], off th:TH_LOAD_NT
	s_mov_b32 s10, exec_lo
	v_lshl_add_u32 v18, v18, 1, v19
	s_wait_xcnt 0x0
	s_delay_alu instid0(VALU_DEP_1)
	v_cmpx_lt_u32_e32 4, v18
	s_cbranch_execz .LBB0_133
; %bb.132:                              ;   in Loop: Header=BB0_131 Depth=3
	global_load_b32 v73, v[16:17], off offset:4 th:TH_LOAD_NT
.LBB0_133:                              ;   in Loop: Header=BB0_131 Depth=3
	s_wait_xcnt 0x0
	s_or_b32 exec_lo, exec_lo, s10
	v_mov_b32_e32 v19, v53
	s_mov_b32 s10, exec_lo
	s_delay_alu instid0(VALU_DEP_1)
	v_cmpx_lt_u64_e32 8, v[18:19]
	s_cbranch_execz .LBB0_135
; %bb.134:                              ;   in Loop: Header=BB0_131 Depth=3
	global_load_b32 v72, v[16:17], off offset:8 th:TH_LOAD_NT
.LBB0_135:                              ;   in Loop: Header=BB0_131 Depth=3
	s_wait_xcnt 0x0
	s_or_b32 exec_lo, exec_lo, s10
	v_lshl_add_u64 v[46:47], v[52:53], 4, v[4:5]
	v_cmp_eq_u32_e32 vcc_lo, 0, v61
	v_mov_b32_e32 v61, 1
	global_load_b128 v[16:19], v[46:47], off th:TH_LOAD_NT
	s_wait_xcnt 0x0
	s_and_saveexec_b32 s11, vcc_lo
	s_cbranch_execz .LBB0_147
; %bb.136:                              ;   in Loop: Header=BB0_131 Depth=3
	s_wait_loadcnt 0x0
	v_cmp_ne_u32_e32 vcc_lo, v2, v17
	v_cmp_ne_u32_e64 s10, v2, v19
	v_mov_b32_e32 v61, 0
	s_or_b32 s10, vcc_lo, s10
	s_delay_alu instid0(SALU_CYCLE_1)
	s_and_saveexec_b32 s12, s10
	s_cbranch_execz .LBB0_146
; %bb.137:                              ;   in Loop: Header=BB0_131 Depth=3
	s_mov_b32 s26, 1
	s_mov_b32 s24, 0
                                        ; implicit-def: $sgpr23
                                        ; implicit-def: $sgpr25
	s_branch .LBB0_139
.LBB0_138:                              ;   in Loop: Header=BB0_139 Depth=4
	s_or_b32 exec_lo, exec_lo, s28
	s_delay_alu instid0(SALU_CYCLE_1) | instskip(NEXT) | instid1(SALU_CYCLE_1)
	s_and_b32 s10, exec_lo, s10
	s_or_b32 s24, s10, s24
	s_and_not1_b32 s10, s23, exec_lo
	s_and_b32 s23, s25, exec_lo
	s_delay_alu instid0(SALU_CYCLE_1)
	s_or_b32 s23, s10, s23
	s_and_not1_b32 exec_lo, exec_lo, s24
	s_cbranch_execz .LBB0_143
.LBB0_139:                              ;   Parent Loop BB0_36 Depth=1
                                        ;     Parent Loop BB0_85 Depth=2
                                        ;       Parent Loop BB0_131 Depth=3
                                        ; =>      This Inner Loop Header: Depth=4
	s_wait_loadcnt 0x0
	global_load_b128 v[16:19], v[46:47], off th:TH_LOAD_NT
	s_add_co_i32 s26, s26, 1
	s_mov_b32 s10, -1
	s_cmp_lg_u32 s26, 0x2710
	s_mov_b32 s27, -1
                                        ; implicit-def: $vgpr75
	s_cbranch_scc0 .LBB0_141
; %bb.140:                              ;   in Loop: Header=BB0_139 Depth=4
	s_or_b32 s25, s25, exec_lo
	s_wait_xcnt 0x0
	s_and_saveexec_b32 s28, s27
	s_cbranch_execz .LBB0_138
	s_branch .LBB0_142
.LBB0_141:                              ;   in Loop: Header=BB0_139 Depth=4
	s_trap 2
	ds_load_b64 v[76:77], v0
	s_mov_b32 s26, 0
	s_wait_storecnt 0x0
	s_wait_loadcnt_dscnt 0x0
	flat_load_b32 v75, v[76:77] scope:SCOPE_SYS
	s_wait_loadcnt_dscnt 0x0
	global_inv scope:SCOPE_SYS
	v_cmp_eq_u32_e32 vcc_lo, 0, v75
	s_or_not1_b32 s27, vcc_lo, exec_lo
	s_or_b32 s25, s25, exec_lo
	s_wait_xcnt 0x0
	s_and_saveexec_b32 s28, s27
	s_cbranch_execz .LBB0_138
.LBB0_142:                              ;   in Loop: Header=BB0_139 Depth=4
	s_wait_loadcnt 0x0
	v_cmp_eq_u32_e32 vcc_lo, v2, v17
	v_cmp_eq_u32_e64 s10, v2, v19
	s_and_not1_b32 s25, s25, exec_lo
	s_and_b32 s10, vcc_lo, s10
	s_delay_alu instid0(SALU_CYCLE_1)
	s_or_not1_b32 s10, s10, exec_lo
	s_branch .LBB0_138
.LBB0_143:                              ;   in Loop: Header=BB0_131 Depth=3
	s_or_b32 exec_lo, exec_lo, s24
	v_mov_b32_e32 v61, 0
	s_and_saveexec_b32 s10, s23
	s_delay_alu instid0(SALU_CYCLE_1)
	s_xor_b32 s10, exec_lo, s10
	s_cbranch_execz .LBB0_145
; %bb.144:                              ;   in Loop: Header=BB0_131 Depth=3
	v_mov_b32_e32 v61, 1
	s_wait_loadcnt 0x0
	s_wait_storecnt 0x0
	ds_store_b32 v0, v75
	s_trap 2
.LBB0_145:                              ;   in Loop: Header=BB0_131 Depth=3
	s_or_b32 exec_lo, exec_lo, s10
.LBB0_146:                              ;   in Loop: Header=BB0_131 Depth=3
	s_delay_alu instid0(SALU_CYCLE_1)
	s_or_b32 exec_lo, exec_lo, s12
.LBB0_147:                              ;   in Loop: Header=BB0_131 Depth=3
	s_delay_alu instid0(SALU_CYCLE_1) | instskip(SKIP_3) | instid1(VALU_DEP_2)
	s_or_b32 exec_lo, exec_lo, s11
	s_wait_loadcnt 0x0
	v_lshlrev_b32_e32 v19, 3, v44
	v_and_b32_e32 v17, 0x7fff, v16
	v_alignbit_b32 v46, v73, v74, v19
	s_delay_alu instid0(VALU_DEP_2) | instskip(NEXT) | instid1(VALU_DEP_2)
	v_cmp_lt_u16_e32 vcc_lo, 0x7c00, v17
                                        ; implicit-def: $vgpr17
	v_and_b32_e32 v47, 0x7fff, v46
	s_delay_alu instid0(VALU_DEP_1) | instskip(SKIP_1) | instid1(SALU_CYCLE_1)
	v_cmp_gt_u16_e64 s10, 0x7c01, v47
	s_and_b32 s11, vcc_lo, s10
	s_xor_b32 s23, s11, -1
	s_and_saveexec_b32 s11, s6
	s_delay_alu instid0(SALU_CYCLE_1)
	s_xor_b32 s24, exec_lo, s11
	s_cbranch_execz .LBB0_153
; %bb.148:                              ;   in Loop: Header=BB0_131 Depth=3
	v_mov_b32_e32 v17, v46
	s_and_saveexec_b32 s25, s23
	s_cbranch_execz .LBB0_152
; %bb.149:                              ;   in Loop: Header=BB0_131 Depth=3
	v_mov_b32_e32 v17, v16
	s_or_b32 s11, vcc_lo, s10
	s_delay_alu instid0(SALU_CYCLE_1)
	s_and_saveexec_b32 s26, s11
; %bb.150:                              ;   in Loop: Header=BB0_131 Depth=3
	v_cmp_gt_f16_e64 s12, v16, v46
	v_cmp_lt_u16_e64 s11, 0x7c00, v47
	s_delay_alu instid0(VALU_DEP_2)
	v_cndmask_b32_e64 v17, v46, v16, s12
	s_and_b32 s11, vcc_lo, s11
	s_delay_alu instid0(VALU_DEP_1) | instid1(SALU_CYCLE_1)
	v_cndmask_b32_e64 v17, v17, 0x7fff, s11
; %bb.151:                              ;   in Loop: Header=BB0_131 Depth=3
	s_or_b32 exec_lo, exec_lo, s26
.LBB0_152:                              ;   in Loop: Header=BB0_131 Depth=3
	s_delay_alu instid0(SALU_CYCLE_1)
	s_or_b32 exec_lo, exec_lo, s25
                                        ; implicit-def: $vgpr47
.LBB0_153:                              ;   in Loop: Header=BB0_131 Depth=3
	s_and_not1_saveexec_b32 s12, s24
	s_cbranch_execz .LBB0_159
; %bb.154:                              ;   in Loop: Header=BB0_131 Depth=3
	v_mov_b32_e32 v17, v46
	s_and_saveexec_b32 s24, s23
	s_cbranch_execz .LBB0_158
; %bb.155:                              ;   in Loop: Header=BB0_131 Depth=3
	v_mov_b32_e32 v17, v16
	s_or_b32 s10, vcc_lo, s10
	s_delay_alu instid0(SALU_CYCLE_1)
	s_and_saveexec_b32 s23, s10
; %bb.156:                              ;   in Loop: Header=BB0_131 Depth=3
	v_cmp_gt_f16_e64 s11, v16, v46
	v_cmp_lt_u16_e64 s10, 0x7c00, v47
	s_delay_alu instid0(VALU_DEP_2)
	v_cndmask_b32_e64 v17, v16, v46, s11
	s_and_b32 s10, vcc_lo, s10
	s_delay_alu instid0(VALU_DEP_1) | instid1(SALU_CYCLE_1)
	v_cndmask_b32_e64 v17, v17, 0x7fff, s10
; %bb.157:                              ;   in Loop: Header=BB0_131 Depth=3
	s_or_b32 exec_lo, exec_lo, s23
.LBB0_158:                              ;   in Loop: Header=BB0_131 Depth=3
	s_delay_alu instid0(SALU_CYCLE_1)
	s_or_b32 exec_lo, exec_lo, s24
.LBB0_159:                              ;   in Loop: Header=BB0_131 Depth=3
	s_delay_alu instid0(SALU_CYCLE_1) | instskip(SKIP_1) | instid1(VALU_DEP_1)
	s_or_b32 exec_lo, exec_lo, s12
	v_dual_lshrrev_b32 v47, 16, v16 :: v_dual_lshrrev_b32 v16, 16, v46
	v_and_b32_e32 v74, 0x7fff, v47
	s_delay_alu instid0(VALU_DEP_2) | instskip(NEXT) | instid1(VALU_DEP_2)
	v_and_b32_e32 v46, 0x7fff, v16
	v_cmp_lt_u16_e32 vcc_lo, 0x7c00, v74
	s_delay_alu instid0(VALU_DEP_2) | instskip(SKIP_1) | instid1(SALU_CYCLE_1)
	v_cmp_gt_u16_e64 s10, 0x7c01, v46
	s_and_b32 s11, vcc_lo, s10
	s_xor_b32 s23, s11, -1
	s_and_saveexec_b32 s11, s6
	s_delay_alu instid0(SALU_CYCLE_1)
	s_xor_b32 s24, exec_lo, s11
	s_cbranch_execz .LBB0_165
; %bb.160:                              ;   in Loop: Header=BB0_131 Depth=3
	s_and_saveexec_b32 s25, s23
	s_cbranch_execz .LBB0_164
; %bb.161:                              ;   in Loop: Header=BB0_131 Depth=3
	s_or_b32 s11, vcc_lo, s10
	s_delay_alu instid0(SALU_CYCLE_1)
	s_and_saveexec_b32 s26, s11
; %bb.162:                              ;   in Loop: Header=BB0_131 Depth=3
	v_cmp_gt_f16_e64 s12, v47, v16
	v_cmp_lt_u16_e64 s11, 0x7c00, v46
	s_delay_alu instid0(VALU_DEP_2)
	v_cndmask_b32_e64 v16, v16, v47, s12
	s_and_b32 s11, vcc_lo, s11
	s_delay_alu instid0(VALU_DEP_1) | instid1(SALU_CYCLE_1)
	v_cndmask_b32_e64 v47, v16, 0x7fff, s11
; %bb.163:                              ;   in Loop: Header=BB0_131 Depth=3
	s_or_b32 exec_lo, exec_lo, s26
	s_delay_alu instid0(VALU_DEP_1)
	v_mov_b32_e32 v16, v47
.LBB0_164:                              ;   in Loop: Header=BB0_131 Depth=3
	s_or_b32 exec_lo, exec_lo, s25
                                        ; implicit-def: $vgpr47
                                        ; implicit-def: $vgpr46
.LBB0_165:                              ;   in Loop: Header=BB0_131 Depth=3
	s_and_not1_saveexec_b32 s12, s24
	s_cbranch_execz .LBB0_171
; %bb.166:                              ;   in Loop: Header=BB0_131 Depth=3
	s_and_saveexec_b32 s24, s23
	s_cbranch_execz .LBB0_170
; %bb.167:                              ;   in Loop: Header=BB0_131 Depth=3
	s_or_b32 s10, vcc_lo, s10
	s_delay_alu instid0(SALU_CYCLE_1)
	s_and_saveexec_b32 s23, s10
; %bb.168:                              ;   in Loop: Header=BB0_131 Depth=3
	v_cmp_gt_f16_e64 s11, v47, v16
	v_cmp_lt_u16_e64 s10, 0x7c00, v46
	s_delay_alu instid0(VALU_DEP_2)
	v_cndmask_b32_e64 v16, v47, v16, s11
	s_and_b32 s10, vcc_lo, s10
	s_delay_alu instid0(VALU_DEP_1) | instid1(SALU_CYCLE_1)
	v_cndmask_b32_e64 v47, v16, 0x7fff, s10
; %bb.169:                              ;   in Loop: Header=BB0_131 Depth=3
	s_or_b32 exec_lo, exec_lo, s23
	s_delay_alu instid0(VALU_DEP_1)
	v_mov_b32_e32 v16, v47
.LBB0_170:                              ;   in Loop: Header=BB0_131 Depth=3
	s_or_b32 exec_lo, exec_lo, s24
.LBB0_171:                              ;   in Loop: Header=BB0_131 Depth=3
	s_delay_alu instid0(SALU_CYCLE_1) | instskip(SKIP_2) | instid1(VALU_DEP_2)
	s_or_b32 exec_lo, exec_lo, s12
	v_alignbit_b32 v46, v72, v73, v19
	v_and_b32_e32 v19, 0x7fff, v18
	v_and_b32_e32 v47, 0x7fff, v46
	s_delay_alu instid0(VALU_DEP_2) | instskip(NEXT) | instid1(VALU_DEP_2)
	v_cmp_lt_u16_e32 vcc_lo, 0x7c00, v19
                                        ; implicit-def: $vgpr19
	v_cmp_gt_u16_e64 s10, 0x7c01, v47
	s_and_b32 s11, vcc_lo, s10
	s_delay_alu instid0(SALU_CYCLE_1) | instskip(SKIP_1) | instid1(SALU_CYCLE_1)
	s_xor_b32 s23, s11, -1
	s_and_saveexec_b32 s11, s6
	s_xor_b32 s24, exec_lo, s11
	s_cbranch_execz .LBB0_177
; %bb.172:                              ;   in Loop: Header=BB0_131 Depth=3
	v_mov_b32_e32 v19, v46
	s_and_saveexec_b32 s25, s23
	s_cbranch_execz .LBB0_176
; %bb.173:                              ;   in Loop: Header=BB0_131 Depth=3
	v_mov_b32_e32 v19, v18
	s_or_b32 s11, vcc_lo, s10
	s_delay_alu instid0(SALU_CYCLE_1)
	s_and_saveexec_b32 s26, s11
; %bb.174:                              ;   in Loop: Header=BB0_131 Depth=3
	v_cmp_gt_f16_e64 s12, v18, v46
	v_cmp_lt_u16_e64 s11, 0x7c00, v47
	s_delay_alu instid0(VALU_DEP_2)
	v_cndmask_b32_e64 v19, v46, v18, s12
	s_and_b32 s11, vcc_lo, s11
	s_delay_alu instid0(VALU_DEP_1) | instid1(SALU_CYCLE_1)
	v_cndmask_b32_e64 v19, v19, 0x7fff, s11
; %bb.175:                              ;   in Loop: Header=BB0_131 Depth=3
	s_or_b32 exec_lo, exec_lo, s26
.LBB0_176:                              ;   in Loop: Header=BB0_131 Depth=3
	s_delay_alu instid0(SALU_CYCLE_1)
	s_or_b32 exec_lo, exec_lo, s25
                                        ; implicit-def: $vgpr47
.LBB0_177:                              ;   in Loop: Header=BB0_131 Depth=3
	s_and_not1_saveexec_b32 s12, s24
	s_cbranch_execz .LBB0_183
; %bb.178:                              ;   in Loop: Header=BB0_131 Depth=3
	v_mov_b32_e32 v19, v46
	s_and_saveexec_b32 s24, s23
	s_cbranch_execz .LBB0_182
; %bb.179:                              ;   in Loop: Header=BB0_131 Depth=3
	v_mov_b32_e32 v19, v18
	s_or_b32 s10, vcc_lo, s10
	s_delay_alu instid0(SALU_CYCLE_1)
	s_and_saveexec_b32 s23, s10
; %bb.180:                              ;   in Loop: Header=BB0_131 Depth=3
	v_cmp_gt_f16_e64 s11, v18, v46
	v_cmp_lt_u16_e64 s10, 0x7c00, v47
	s_delay_alu instid0(VALU_DEP_2)
	v_cndmask_b32_e64 v19, v18, v46, s11
	s_and_b32 s10, vcc_lo, s10
	s_delay_alu instid0(VALU_DEP_1) | instid1(SALU_CYCLE_1)
	v_cndmask_b32_e64 v19, v19, 0x7fff, s10
; %bb.181:                              ;   in Loop: Header=BB0_131 Depth=3
	s_or_b32 exec_lo, exec_lo, s23
.LBB0_182:                              ;   in Loop: Header=BB0_131 Depth=3
	s_delay_alu instid0(SALU_CYCLE_1)
	s_or_b32 exec_lo, exec_lo, s24
.LBB0_183:                              ;   in Loop: Header=BB0_131 Depth=3
	s_delay_alu instid0(SALU_CYCLE_1) | instskip(SKIP_2) | instid1(VALU_DEP_2)
	s_or_b32 exec_lo, exec_lo, s12
	v_lshrrev_b32_e32 v47, 16, v18
	v_lshrrev_b32_e32 v18, 16, v46
	v_and_b32_e32 v72, 0x7fff, v47
	s_delay_alu instid0(VALU_DEP_2) | instskip(NEXT) | instid1(VALU_DEP_2)
	v_and_b32_e32 v46, 0x7fff, v18
	v_cmp_lt_u16_e32 vcc_lo, 0x7c00, v72
	s_delay_alu instid0(VALU_DEP_2) | instskip(SKIP_1) | instid1(SALU_CYCLE_1)
	v_cmp_gt_u16_e64 s10, 0x7c01, v46
	s_and_b32 s11, vcc_lo, s10
	s_xor_b32 s23, s11, -1
	s_and_saveexec_b32 s11, s6
	s_delay_alu instid0(SALU_CYCLE_1)
	s_xor_b32 s24, exec_lo, s11
	s_cbranch_execz .LBB0_189
; %bb.184:                              ;   in Loop: Header=BB0_131 Depth=3
	s_and_saveexec_b32 s25, s23
	s_cbranch_execz .LBB0_188
; %bb.185:                              ;   in Loop: Header=BB0_131 Depth=3
	s_or_b32 s11, vcc_lo, s10
	s_delay_alu instid0(SALU_CYCLE_1)
	s_and_saveexec_b32 s26, s11
; %bb.186:                              ;   in Loop: Header=BB0_131 Depth=3
	v_cmp_gt_f16_e64 s12, v47, v18
	v_cmp_lt_u16_e64 s11, 0x7c00, v46
	s_delay_alu instid0(VALU_DEP_2)
	v_cndmask_b32_e64 v18, v18, v47, s12
	s_and_b32 s11, vcc_lo, s11
	s_delay_alu instid0(VALU_DEP_1) | instid1(SALU_CYCLE_1)
	v_cndmask_b32_e64 v47, v18, 0x7fff, s11
; %bb.187:                              ;   in Loop: Header=BB0_131 Depth=3
	s_or_b32 exec_lo, exec_lo, s26
	s_delay_alu instid0(VALU_DEP_1)
	v_mov_b32_e32 v18, v47
.LBB0_188:                              ;   in Loop: Header=BB0_131 Depth=3
	s_or_b32 exec_lo, exec_lo, s25
                                        ; implicit-def: $vgpr47
                                        ; implicit-def: $vgpr46
.LBB0_189:                              ;   in Loop: Header=BB0_131 Depth=3
	s_and_not1_saveexec_b32 s12, s24
	s_cbranch_execz .LBB0_130
; %bb.190:                              ;   in Loop: Header=BB0_131 Depth=3
	s_and_saveexec_b32 s24, s23
	s_cbranch_execz .LBB0_129
; %bb.191:                              ;   in Loop: Header=BB0_131 Depth=3
	s_or_b32 s10, vcc_lo, s10
	s_delay_alu instid0(SALU_CYCLE_1)
	s_and_saveexec_b32 s23, s10
	s_cbranch_execz .LBB0_128
; %bb.192:                              ;   in Loop: Header=BB0_131 Depth=3
	v_cmp_gt_f16_e64 s11, v47, v18
	v_cmp_lt_u16_e64 s10, 0x7c00, v46
	s_delay_alu instid0(VALU_DEP_2)
	v_cndmask_b32_e64 v18, v47, v18, s11
	s_and_b32 s10, vcc_lo, s10
	s_delay_alu instid0(VALU_DEP_1) | instid1(SALU_CYCLE_1)
	v_cndmask_b32_e64 v47, v18, 0x7fff, s10
	s_branch .LBB0_128
.LBB0_193:                              ;   in Loop: Header=BB0_85 Depth=2
	s_or_b32 exec_lo, exec_lo, s22
	s_delay_alu instid0(SALU_CYCLE_1)
	s_or_b32 exec_lo, exec_lo, s21
	s_and_saveexec_b32 s10, s3
	s_cbranch_execz .LBB0_122
.LBB0_194:                              ;   in Loop: Header=BB0_85 Depth=2
	s_and_saveexec_b32 s11, s4
	s_delay_alu instid0(SALU_CYCLE_1)
	s_xor_b32 s11, exec_lo, s11
	s_cbranch_execz .LBB0_209
; %bb.195:                              ;   in Loop: Header=BB0_85 Depth=2
	s_and_saveexec_b32 s12, s5
	s_cbranch_execz .LBB0_208
; %bb.196:                              ;   in Loop: Header=BB0_85 Depth=2
	s_mov_b32 s22, exec_lo
	s_mov_b32 s21, exec_lo
	v_mbcnt_lo_u32_b32 v2, s22, 0
	global_wb scope:SCOPE_DEV
	s_wait_storecnt 0x0
	s_wait_loadcnt_dscnt 0x0
	global_inv scope:SCOPE_DEV
	v_cmpx_eq_u32_e32 0, v2
	s_cbranch_execz .LBB0_198
; %bb.197:                              ;   in Loop: Header=BB0_85 Depth=2
	s_bcnt1_i32_b32 s22, s22
	s_delay_alu instid0(SALU_CYCLE_1)
	v_dual_mov_b32 v5, v53 :: v_dual_mov_b32 v4, s22
	s_wait_loadcnt 0x0
	ds_add_u64 v0, v[4:5]
	s_trap 2
.LBB0_198:                              ;   in Loop: Header=BB0_85 Depth=2
	s_or_b32 exec_lo, exec_lo, s21
	s_trap 2
	ds_load_b64 v[4:5], v0
	s_wait_dscnt 0x0
	v_add_nc_u64_e32 v[64:65], v[64:65], v[82:83]
	s_mov_b32 s21, exec_lo
	s_delay_alu instid0(VALU_DEP_1)
	v_cmpx_lt_u64_e64 v[4:5], v[64:65]
	s_cbranch_execz .LBB0_207
; %bb.199:                              ;   in Loop: Header=BB0_85 Depth=2
	s_mov_b32 s22, 0
	s_mov_b32 s25, 0
                                        ; implicit-def: $sgpr23
                                        ; implicit-def: $sgpr24
	s_branch .LBB0_201
.LBB0_200:                              ;   in Loop: Header=BB0_201 Depth=3
	s_or_b32 exec_lo, exec_lo, s27
	s_delay_alu instid0(SALU_CYCLE_1) | instskip(NEXT) | instid1(SALU_CYCLE_1)
	s_and_b32 s26, exec_lo, s28
	s_or_b32 s22, s26, s22
	s_and_not1_b32 s23, s23, exec_lo
	s_and_b32 s26, s24, exec_lo
	s_delay_alu instid0(SALU_CYCLE_1)
	s_or_b32 s23, s23, s26
	s_and_not1_b32 exec_lo, exec_lo, s22
	s_cbranch_execz .LBB0_205
.LBB0_201:                              ;   Parent Loop BB0_36 Depth=1
                                        ;     Parent Loop BB0_85 Depth=2
                                        ; =>    This Inner Loop Header: Depth=3
	s_add_co_i32 s25, s25, 1
	s_delay_alu instid0(SALU_CYCLE_1) | instskip(SKIP_1) | instid1(SALU_CYCLE_1)
	s_cmp_lg_u32 s25, 0x2710
	s_cselect_b32 s26, -1, 0
	s_and_b32 vcc_lo, exec_lo, s26
	s_cbranch_vccz .LBB0_203
; %bb.202:                              ;   in Loop: Header=BB0_201 Depth=3
	s_mov_b32 s28, -1
	s_or_b32 s24, s24, exec_lo
	s_and_saveexec_b32 s27, s26
	s_cbranch_execz .LBB0_200
	s_branch .LBB0_204
.LBB0_203:                              ;   in Loop: Header=BB0_201 Depth=3
	s_trap 2
	ds_load_b64 v[4:5], v0
	s_and_not1_b32 s26, s26, exec_lo
	s_mov_b32 s25, 0
	s_wait_loadcnt_dscnt 0x0
	flat_load_b32 v2, v[4:5] scope:SCOPE_SYS
	s_wait_loadcnt_dscnt 0x0
	global_inv scope:SCOPE_SYS
	v_cmp_eq_u32_e32 vcc_lo, 0, v2
	s_and_b32 s27, vcc_lo, exec_lo
	s_delay_alu instid0(SALU_CYCLE_1)
	s_or_b32 s26, s26, s27
	s_mov_b32 s28, -1
	s_or_b32 s24, s24, exec_lo
	s_and_saveexec_b32 s27, s26
	s_cbranch_execz .LBB0_200
.LBB0_204:                              ;   in Loop: Header=BB0_201 Depth=3
	s_sleep 1
	s_trap 2
	ds_load_b64 v[4:5], v0
	s_wait_dscnt 0x0
	s_and_not1_b32 s24, s24, exec_lo
	v_cmp_ge_u64_e32 vcc_lo, v[4:5], v[64:65]
	s_or_not1_b32 s28, vcc_lo, exec_lo
	s_branch .LBB0_200
.LBB0_205:                              ;   in Loop: Header=BB0_85 Depth=2
	s_or_b32 exec_lo, exec_lo, s22
	s_and_saveexec_b32 s22, s23
	s_delay_alu instid0(SALU_CYCLE_1)
	s_xor_b32 s22, exec_lo, s22
	s_cbranch_execz .LBB0_207
; %bb.206:                              ;   in Loop: Header=BB0_85 Depth=2
	ds_store_b32 v0, v60
	s_trap 2
.LBB0_207:                              ;   in Loop: Header=BB0_85 Depth=2
	s_or_b32 exec_lo, exec_lo, s21
	;;#ASMSTART
	s_wakeup
	;;#ASMEND
.LBB0_208:                              ;   in Loop: Header=BB0_85 Depth=2
	s_or_b32 exec_lo, exec_lo, s12
.LBB0_209:                              ;   in Loop: Header=BB0_85 Depth=2
	s_and_not1_saveexec_b32 s11, s11
	s_cbranch_execz .LBB0_211
; %bb.210:                              ;   in Loop: Header=BB0_85 Depth=2
	global_wb scope:SCOPE_DEV
	s_wait_storecnt 0x0
	s_wait_loadcnt_dscnt 0x0
	global_inv scope:SCOPE_DEV
	s_barrier_signal -1
	s_barrier_wait -1
.LBB0_211:                              ;   in Loop: Header=BB0_85 Depth=2
	s_or_b32 exec_lo, exec_lo, s11
	s_delay_alu instid0(SALU_CYCLE_1)
	s_or_b32 exec_lo, exec_lo, s10
	s_and_saveexec_b32 s10, s7
	s_cbranch_execnz .LBB0_123
	s_branch .LBB0_124
.LBB0_212:                              ;   in Loop: Header=BB0_36 Depth=1
	s_delay_alu instid0(VALU_DEP_1)
	v_mov_b64_e32 v[16:17], v[118:119]
	s_and_saveexec_b32 s12, s9
	s_cbranch_execnz .LBB0_215
; %bb.213:                              ;   in Loop: Header=BB0_36 Depth=1
	s_or_b32 exec_lo, exec_lo, s12
	s_and_saveexec_b32 s9, s3
	s_cbranch_execnz .LBB0_292
.LBB0_214:                              ;   in Loop: Header=BB0_36 Depth=1
	s_or_b32 exec_lo, exec_lo, s9
	s_and_saveexec_b32 s9, s7
	s_cbranch_execz .LBB0_35
	s_branch .LBB0_310
.LBB0_215:                              ;   in Loop: Header=BB0_36 Depth=1
	flat_load_b32 v2, v[22:23]
	v_dual_add_nc_u32 v21, 1, v34 :: v_dual_bitop2_b32 v18, 7, v34 bitop3:0x40
	v_lshlrev_b64_e32 v[4:5], 1, v[116:117]
	v_lshlrev_b32_e32 v52, 1, v30
	s_mov_b32 s20, 0
	s_delay_alu instid0(VALU_DEP_3) | instskip(SKIP_2) | instid1(VALU_DEP_4)
	v_mul_lo_u32 v118, v18, s17
	v_mov_b32_e32 v40, v0
	s_wait_loadcnt_dscnt 0x101
	v_add_nc_u64_e32 v[18:19], v[10:11], v[4:5]
	s_delay_alu instid0(VALU_DEP_3) | instskip(NEXT) | instid1(VALU_DEP_1)
	v_ashrrev_i32_e32 v119, 31, v118
	v_lshl_add_u64 v[118:119], v[118:119], 4, v[32:33]
	s_wait_loadcnt_dscnt 0x0
	v_ashrrev_i32_e32 v3, 31, v2
	s_delay_alu instid0(VALU_DEP_1) | instskip(NEXT) | instid1(VALU_DEP_1)
	v_mul_u64_e32 v[2:3], v[68:69], v[2:3]
	v_lshl_add_u64 v[2:3], v[2:3], 1, v[18:19]
	v_add_nc_u64_e32 v[18:19], v[8:9], v[4:5]
	s_delay_alu instid0(VALU_DEP_2)
	v_add_nc_u64_e32 v[116:117], v[2:3], v[52:53]
	s_branch .LBB0_217
.LBB0_216:                              ;   in Loop: Header=BB0_217 Depth=2
	v_dual_lshlrev_b32 v52, 1, v112 :: v_dual_sub_nc_u32 v1, v1, v112
	v_add_nc_u32_e32 v40, v40, v20
	s_delay_alu instid0(VALU_DEP_2) | instskip(NEXT) | instid1(VALU_DEP_3)
	v_add_nc_u64_e32 v[116:117], v[116:117], v[52:53]
	v_cmp_gt_i32_e32 vcc_lo, 1, v1
	s_wait_xcnt 0x0
	v_add_nc_u64_e32 v[18:19], v[18:19], v[52:53]
	s_or_b32 s20, vcc_lo, s20
	s_delay_alu instid0(SALU_CYCLE_1)
	s_and_not1_b32 exec_lo, exec_lo, s20
	s_cbranch_execz .LBB0_291
.LBB0_217:                              ;   Parent Loop BB0_36 Depth=1
                                        ; =>  This Loop Header: Depth=2
                                        ;       Child Loop BB0_225 Depth 3
	s_delay_alu instid0(VALU_DEP_1)
	v_dual_mov_b32 v3, v117 :: v_dual_bitop2_b32 v2, -4, v116 bitop3:0x40
	v_min_u32_e32 v4, 4, v1
	v_dual_mov_b32 v44, 0 :: v_dual_bitop2_b32 v5, 3, v116 bitop3:0x40
	v_mov_b32_e32 v45, 0
	global_load_b32 v46, v[2:3], off th:TH_LOAD_NT
	s_mov_b32 s9, exec_lo
	v_lshl_add_u32 v52, v4, 1, v5
	s_wait_xcnt 0x0
	s_delay_alu instid0(VALU_DEP_1)
	v_cmpx_lt_u32_e32 4, v52
	s_cbranch_execz .LBB0_219
; %bb.218:                              ;   in Loop: Header=BB0_217 Depth=2
	global_load_b32 v45, v[2:3], off offset:4 th:TH_LOAD_NT
.LBB0_219:                              ;   in Loop: Header=BB0_217 Depth=2
	s_wait_xcnt 0x0
	s_or_b32 exec_lo, exec_lo, s9
	s_delay_alu instid0(SALU_CYCLE_1)
	s_mov_b32 s9, exec_lo
	v_cmpx_lt_u64_e32 8, v[52:53]
	s_cbranch_execz .LBB0_221
; %bb.220:                              ;   in Loop: Header=BB0_217 Depth=2
	global_load_b32 v44, v[2:3], off offset:8 th:TH_LOAD_NT
.LBB0_221:                              ;   in Loop: Header=BB0_217 Depth=2
	s_wait_xcnt 0x0
	s_or_b32 exec_lo, exec_lo, s9
	v_mov_b32_e32 v41, v53
	v_cmp_eq_u32_e32 vcc_lo, 0, v61
	v_mov_b32_e32 v61, 1
	s_delay_alu instid0(VALU_DEP_3)
	v_lshl_add_u64 v[42:43], v[40:41], 4, v[118:119]
	global_load_b128 v[2:5], v[42:43], off th:TH_LOAD_NT
	s_wait_xcnt 0x0
	s_and_saveexec_b32 s10, vcc_lo
	s_cbranch_execz .LBB0_233
; %bb.222:                              ;   in Loop: Header=BB0_217 Depth=2
	s_wait_loadcnt 0x0
	v_cmp_ne_u32_e32 vcc_lo, v21, v3
	v_cmp_ne_u32_e64 s9, v21, v5
	v_mov_b32_e32 v61, 0
	s_or_b32 s9, vcc_lo, s9
	s_delay_alu instid0(SALU_CYCLE_1)
	s_and_saveexec_b32 s11, s9
	s_cbranch_execz .LBB0_232
; %bb.223:                              ;   in Loop: Header=BB0_217 Depth=2
	s_mov_b32 s24, 1
	s_mov_b32 s22, 0
                                        ; implicit-def: $sgpr21
                                        ; implicit-def: $sgpr23
	s_branch .LBB0_225
.LBB0_224:                              ;   in Loop: Header=BB0_225 Depth=3
	s_or_b32 exec_lo, exec_lo, s26
	s_delay_alu instid0(SALU_CYCLE_1) | instskip(NEXT) | instid1(SALU_CYCLE_1)
	s_and_b32 s9, exec_lo, s9
	s_or_b32 s22, s9, s22
	s_and_not1_b32 s9, s21, exec_lo
	s_and_b32 s21, s23, exec_lo
	s_delay_alu instid0(SALU_CYCLE_1)
	s_or_b32 s21, s9, s21
	s_and_not1_b32 exec_lo, exec_lo, s22
	s_cbranch_execz .LBB0_229
.LBB0_225:                              ;   Parent Loop BB0_36 Depth=1
                                        ;     Parent Loop BB0_217 Depth=2
                                        ; =>    This Inner Loop Header: Depth=3
	s_wait_loadcnt 0x0
	global_load_b128 v[2:5], v[42:43], off th:TH_LOAD_NT
	s_add_co_i32 s24, s24, 1
	s_mov_b32 s9, -1
	s_cmp_lg_u32 s24, 0x2710
	s_mov_b32 s25, -1
                                        ; implicit-def: $vgpr52
	s_cbranch_scc0 .LBB0_227
; %bb.226:                              ;   in Loop: Header=BB0_225 Depth=3
	s_or_b32 s23, s23, exec_lo
	s_wait_xcnt 0x0
	s_and_saveexec_b32 s26, s25
	s_cbranch_execz .LBB0_224
	s_branch .LBB0_228
.LBB0_227:                              ;   in Loop: Header=BB0_225 Depth=3
	s_trap 2
	ds_load_b64 v[62:63], v0
	s_mov_b32 s24, 0
	s_wait_storecnt 0x0
	s_wait_loadcnt_dscnt 0x0
	flat_load_b32 v52, v[62:63] scope:SCOPE_SYS
	s_wait_loadcnt_dscnt 0x0
	global_inv scope:SCOPE_SYS
	v_cmp_eq_u32_e32 vcc_lo, 0, v52
	s_or_not1_b32 s25, vcc_lo, exec_lo
	s_or_b32 s23, s23, exec_lo
	s_wait_xcnt 0x0
	s_and_saveexec_b32 s26, s25
	s_cbranch_execz .LBB0_224
.LBB0_228:                              ;   in Loop: Header=BB0_225 Depth=3
	s_wait_loadcnt 0x0
	v_cmp_eq_u32_e32 vcc_lo, v21, v3
	v_cmp_eq_u32_e64 s9, v21, v5
	s_and_not1_b32 s23, s23, exec_lo
	s_and_b32 s9, vcc_lo, s9
	s_delay_alu instid0(SALU_CYCLE_1)
	s_or_not1_b32 s9, s9, exec_lo
	s_branch .LBB0_224
.LBB0_229:                              ;   in Loop: Header=BB0_217 Depth=2
	s_or_b32 exec_lo, exec_lo, s22
	v_mov_b32_e32 v61, 0
	s_and_saveexec_b32 s9, s21
	s_delay_alu instid0(SALU_CYCLE_1)
	s_xor_b32 s9, exec_lo, s9
	s_cbranch_execz .LBB0_231
; %bb.230:                              ;   in Loop: Header=BB0_217 Depth=2
	v_mov_b32_e32 v61, 1
	s_wait_loadcnt 0x0
	s_wait_storecnt 0x0
	ds_store_b32 v0, v52
	s_trap 2
.LBB0_231:                              ;   in Loop: Header=BB0_217 Depth=2
	s_or_b32 exec_lo, exec_lo, s9
.LBB0_232:                              ;   in Loop: Header=BB0_217 Depth=2
	s_delay_alu instid0(SALU_CYCLE_1)
	s_or_b32 exec_lo, exec_lo, s11
.LBB0_233:                              ;   in Loop: Header=BB0_217 Depth=2
	s_delay_alu instid0(SALU_CYCLE_1) | instskip(SKIP_3) | instid1(VALU_DEP_2)
	s_or_b32 exec_lo, exec_lo, s10
	s_wait_loadcnt 0x0
	v_lshlrev_b32_e32 v5, 3, v116
	v_and_b32_e32 v3, 0x7fff, v2
	v_alignbit_b32 v52, v45, v46, v5
	s_delay_alu instid0(VALU_DEP_2) | instskip(NEXT) | instid1(VALU_DEP_2)
	v_cmp_lt_u16_e32 vcc_lo, 0x7c00, v3
                                        ; implicit-def: $vgpr3
	v_and_b32_e32 v41, 0x7fff, v52
	s_delay_alu instid0(VALU_DEP_1) | instskip(SKIP_1) | instid1(SALU_CYCLE_1)
	v_cmp_gt_u16_e64 s9, 0x7c01, v41
	s_and_b32 s10, vcc_lo, s9
	s_xor_b32 s21, s10, -1
	s_and_saveexec_b32 s10, s6
	s_delay_alu instid0(SALU_CYCLE_1)
	s_xor_b32 s22, exec_lo, s10
	s_cbranch_execz .LBB0_239
; %bb.234:                              ;   in Loop: Header=BB0_217 Depth=2
	v_mov_b32_e32 v3, v52
	s_and_saveexec_b32 s23, s21
	s_cbranch_execz .LBB0_238
; %bb.235:                              ;   in Loop: Header=BB0_217 Depth=2
	v_mov_b32_e32 v3, v2
	s_or_b32 s10, vcc_lo, s9
	s_delay_alu instid0(SALU_CYCLE_1)
	s_and_saveexec_b32 s24, s10
; %bb.236:                              ;   in Loop: Header=BB0_217 Depth=2
	v_cmp_gt_f16_e64 s11, v2, v52
	v_cmp_lt_u16_e64 s10, 0x7c00, v41
	s_delay_alu instid0(VALU_DEP_2)
	v_cndmask_b32_e64 v3, v52, v2, s11
	s_and_b32 s10, vcc_lo, s10
	s_delay_alu instid0(VALU_DEP_1) | instid1(SALU_CYCLE_1)
	v_cndmask_b32_e64 v3, v3, 0x7fff, s10
; %bb.237:                              ;   in Loop: Header=BB0_217 Depth=2
	s_or_b32 exec_lo, exec_lo, s24
.LBB0_238:                              ;   in Loop: Header=BB0_217 Depth=2
	s_delay_alu instid0(SALU_CYCLE_1)
	s_or_b32 exec_lo, exec_lo, s23
                                        ; implicit-def: $vgpr41
.LBB0_239:                              ;   in Loop: Header=BB0_217 Depth=2
	s_and_not1_saveexec_b32 s11, s22
	s_cbranch_execz .LBB0_245
; %bb.240:                              ;   in Loop: Header=BB0_217 Depth=2
	v_mov_b32_e32 v3, v52
	s_and_saveexec_b32 s22, s21
	s_cbranch_execz .LBB0_244
; %bb.241:                              ;   in Loop: Header=BB0_217 Depth=2
	v_mov_b32_e32 v3, v2
	s_or_b32 s9, vcc_lo, s9
	s_delay_alu instid0(SALU_CYCLE_1)
	s_and_saveexec_b32 s21, s9
; %bb.242:                              ;   in Loop: Header=BB0_217 Depth=2
	v_cmp_gt_f16_e64 s10, v2, v52
	v_cmp_lt_u16_e64 s9, 0x7c00, v41
	s_delay_alu instid0(VALU_DEP_2)
	v_cndmask_b32_e64 v3, v2, v52, s10
	s_and_b32 s9, vcc_lo, s9
	s_delay_alu instid0(VALU_DEP_1) | instid1(SALU_CYCLE_1)
	v_cndmask_b32_e64 v3, v3, 0x7fff, s9
; %bb.243:                              ;   in Loop: Header=BB0_217 Depth=2
	s_or_b32 exec_lo, exec_lo, s21
.LBB0_244:                              ;   in Loop: Header=BB0_217 Depth=2
	s_delay_alu instid0(SALU_CYCLE_1)
	s_or_b32 exec_lo, exec_lo, s22
.LBB0_245:                              ;   in Loop: Header=BB0_217 Depth=2
	s_delay_alu instid0(SALU_CYCLE_1) | instskip(SKIP_1) | instid1(VALU_DEP_1)
	s_or_b32 exec_lo, exec_lo, s11
	v_dual_lshrrev_b32 v41, 16, v2 :: v_dual_lshrrev_b32 v2, 16, v52
	v_and_b32_e32 v42, 0x7fff, v41
	s_delay_alu instid0(VALU_DEP_2) | instskip(NEXT) | instid1(VALU_DEP_2)
	v_and_b32_e32 v52, 0x7fff, v2
	v_cmp_lt_u16_e32 vcc_lo, 0x7c00, v42
	s_delay_alu instid0(VALU_DEP_2) | instskip(SKIP_1) | instid1(SALU_CYCLE_1)
	v_cmp_gt_u16_e64 s9, 0x7c01, v52
	s_and_b32 s10, vcc_lo, s9
	s_xor_b32 s21, s10, -1
	s_and_saveexec_b32 s10, s6
	s_delay_alu instid0(SALU_CYCLE_1)
	s_xor_b32 s22, exec_lo, s10
	s_cbranch_execz .LBB0_251
; %bb.246:                              ;   in Loop: Header=BB0_217 Depth=2
	s_and_saveexec_b32 s23, s21
	s_cbranch_execz .LBB0_250
; %bb.247:                              ;   in Loop: Header=BB0_217 Depth=2
	s_or_b32 s10, vcc_lo, s9
	s_delay_alu instid0(SALU_CYCLE_1)
	s_and_saveexec_b32 s24, s10
; %bb.248:                              ;   in Loop: Header=BB0_217 Depth=2
	v_cmp_gt_f16_e64 s11, v41, v2
	v_cmp_lt_u16_e64 s10, 0x7c00, v52
	s_delay_alu instid0(VALU_DEP_2)
	v_cndmask_b32_e64 v2, v2, v41, s11
	s_and_b32 s10, vcc_lo, s10
	s_delay_alu instid0(VALU_DEP_1) | instid1(SALU_CYCLE_1)
	v_cndmask_b32_e64 v41, v2, 0x7fff, s10
; %bb.249:                              ;   in Loop: Header=BB0_217 Depth=2
	s_or_b32 exec_lo, exec_lo, s24
	s_delay_alu instid0(VALU_DEP_1)
	v_mov_b32_e32 v2, v41
.LBB0_250:                              ;   in Loop: Header=BB0_217 Depth=2
	s_or_b32 exec_lo, exec_lo, s23
                                        ; implicit-def: $vgpr41
                                        ; implicit-def: $vgpr52
.LBB0_251:                              ;   in Loop: Header=BB0_217 Depth=2
	s_and_not1_saveexec_b32 s11, s22
	s_cbranch_execz .LBB0_257
; %bb.252:                              ;   in Loop: Header=BB0_217 Depth=2
	s_and_saveexec_b32 s22, s21
	s_cbranch_execz .LBB0_256
; %bb.253:                              ;   in Loop: Header=BB0_217 Depth=2
	s_or_b32 s9, vcc_lo, s9
	s_delay_alu instid0(SALU_CYCLE_1)
	s_and_saveexec_b32 s21, s9
; %bb.254:                              ;   in Loop: Header=BB0_217 Depth=2
	v_cmp_gt_f16_e64 s10, v41, v2
	v_cmp_lt_u16_e64 s9, 0x7c00, v52
	s_delay_alu instid0(VALU_DEP_2)
	v_cndmask_b32_e64 v2, v41, v2, s10
	s_and_b32 s9, vcc_lo, s9
	s_delay_alu instid0(VALU_DEP_1) | instid1(SALU_CYCLE_1)
	v_cndmask_b32_e64 v41, v2, 0x7fff, s9
; %bb.255:                              ;   in Loop: Header=BB0_217 Depth=2
	s_or_b32 exec_lo, exec_lo, s21
	s_delay_alu instid0(VALU_DEP_1)
	v_mov_b32_e32 v2, v41
.LBB0_256:                              ;   in Loop: Header=BB0_217 Depth=2
	s_or_b32 exec_lo, exec_lo, s22
.LBB0_257:                              ;   in Loop: Header=BB0_217 Depth=2
	s_delay_alu instid0(SALU_CYCLE_1) | instskip(SKIP_2) | instid1(VALU_DEP_2)
	s_or_b32 exec_lo, exec_lo, s11
	v_alignbit_b32 v52, v44, v45, v5
	v_and_b32_e32 v5, 0x7fff, v4
	v_and_b32_e32 v41, 0x7fff, v52
	s_delay_alu instid0(VALU_DEP_2) | instskip(NEXT) | instid1(VALU_DEP_2)
	v_cmp_lt_u16_e32 vcc_lo, 0x7c00, v5
                                        ; implicit-def: $vgpr5
	v_cmp_gt_u16_e64 s9, 0x7c01, v41
	s_and_b32 s10, vcc_lo, s9
	s_delay_alu instid0(SALU_CYCLE_1) | instskip(SKIP_1) | instid1(SALU_CYCLE_1)
	s_xor_b32 s21, s10, -1
	s_and_saveexec_b32 s10, s6
	s_xor_b32 s22, exec_lo, s10
	s_cbranch_execz .LBB0_263
; %bb.258:                              ;   in Loop: Header=BB0_217 Depth=2
	v_mov_b32_e32 v5, v52
	s_and_saveexec_b32 s23, s21
	s_cbranch_execz .LBB0_262
; %bb.259:                              ;   in Loop: Header=BB0_217 Depth=2
	v_mov_b32_e32 v5, v4
	s_or_b32 s10, vcc_lo, s9
	s_delay_alu instid0(SALU_CYCLE_1)
	s_and_saveexec_b32 s24, s10
; %bb.260:                              ;   in Loop: Header=BB0_217 Depth=2
	v_cmp_gt_f16_e64 s11, v4, v52
	v_cmp_lt_u16_e64 s10, 0x7c00, v41
	s_delay_alu instid0(VALU_DEP_2)
	v_cndmask_b32_e64 v5, v52, v4, s11
	s_and_b32 s10, vcc_lo, s10
	s_delay_alu instid0(VALU_DEP_1) | instid1(SALU_CYCLE_1)
	v_cndmask_b32_e64 v5, v5, 0x7fff, s10
; %bb.261:                              ;   in Loop: Header=BB0_217 Depth=2
	s_or_b32 exec_lo, exec_lo, s24
.LBB0_262:                              ;   in Loop: Header=BB0_217 Depth=2
	s_delay_alu instid0(SALU_CYCLE_1)
	s_or_b32 exec_lo, exec_lo, s23
                                        ; implicit-def: $vgpr41
.LBB0_263:                              ;   in Loop: Header=BB0_217 Depth=2
	s_and_not1_saveexec_b32 s11, s22
	s_cbranch_execz .LBB0_269
; %bb.264:                              ;   in Loop: Header=BB0_217 Depth=2
	v_mov_b32_e32 v5, v52
	s_and_saveexec_b32 s22, s21
	s_cbranch_execz .LBB0_268
; %bb.265:                              ;   in Loop: Header=BB0_217 Depth=2
	v_mov_b32_e32 v5, v4
	s_or_b32 s9, vcc_lo, s9
	s_delay_alu instid0(SALU_CYCLE_1)
	s_and_saveexec_b32 s21, s9
; %bb.266:                              ;   in Loop: Header=BB0_217 Depth=2
	v_cmp_gt_f16_e64 s10, v4, v52
	v_cmp_lt_u16_e64 s9, 0x7c00, v41
	s_delay_alu instid0(VALU_DEP_2)
	v_cndmask_b32_e64 v5, v4, v52, s10
	s_and_b32 s9, vcc_lo, s9
	s_delay_alu instid0(VALU_DEP_1) | instid1(SALU_CYCLE_1)
	v_cndmask_b32_e64 v5, v5, 0x7fff, s9
; %bb.267:                              ;   in Loop: Header=BB0_217 Depth=2
	s_or_b32 exec_lo, exec_lo, s21
.LBB0_268:                              ;   in Loop: Header=BB0_217 Depth=2
	s_delay_alu instid0(SALU_CYCLE_1)
	s_or_b32 exec_lo, exec_lo, s22
.LBB0_269:                              ;   in Loop: Header=BB0_217 Depth=2
	s_delay_alu instid0(SALU_CYCLE_1) | instskip(SKIP_2) | instid1(VALU_DEP_2)
	s_or_b32 exec_lo, exec_lo, s11
	v_lshrrev_b32_e32 v41, 16, v4
	v_lshrrev_b32_e32 v4, 16, v52
	v_and_b32_e32 v42, 0x7fff, v41
	s_delay_alu instid0(VALU_DEP_2) | instskip(NEXT) | instid1(VALU_DEP_2)
	v_and_b32_e32 v52, 0x7fff, v4
	v_cmp_lt_u16_e32 vcc_lo, 0x7c00, v42
	s_delay_alu instid0(VALU_DEP_2) | instskip(SKIP_1) | instid1(SALU_CYCLE_1)
	v_cmp_gt_u16_e64 s9, 0x7c01, v52
	s_and_b32 s10, vcc_lo, s9
	s_xor_b32 s21, s10, -1
	s_and_saveexec_b32 s10, s6
	s_delay_alu instid0(SALU_CYCLE_1)
	s_xor_b32 s22, exec_lo, s10
	s_cbranch_execz .LBB0_275
; %bb.270:                              ;   in Loop: Header=BB0_217 Depth=2
	s_and_saveexec_b32 s23, s21
	s_cbranch_execz .LBB0_274
; %bb.271:                              ;   in Loop: Header=BB0_217 Depth=2
	s_or_b32 s10, vcc_lo, s9
	s_delay_alu instid0(SALU_CYCLE_1)
	s_and_saveexec_b32 s24, s10
; %bb.272:                              ;   in Loop: Header=BB0_217 Depth=2
	v_cmp_gt_f16_e64 s11, v41, v4
	v_cmp_lt_u16_e64 s10, 0x7c00, v52
	s_delay_alu instid0(VALU_DEP_2)
	v_cndmask_b32_e64 v4, v4, v41, s11
	s_and_b32 s10, vcc_lo, s10
	s_delay_alu instid0(VALU_DEP_1) | instid1(SALU_CYCLE_1)
	v_cndmask_b32_e64 v41, v4, 0x7fff, s10
; %bb.273:                              ;   in Loop: Header=BB0_217 Depth=2
	s_or_b32 exec_lo, exec_lo, s24
	s_delay_alu instid0(VALU_DEP_1)
	v_mov_b32_e32 v4, v41
.LBB0_274:                              ;   in Loop: Header=BB0_217 Depth=2
	s_or_b32 exec_lo, exec_lo, s23
                                        ; implicit-def: $vgpr41
                                        ; implicit-def: $vgpr52
.LBB0_275:                              ;   in Loop: Header=BB0_217 Depth=2
	s_and_not1_saveexec_b32 s11, s22
	s_cbranch_execz .LBB0_281
; %bb.276:                              ;   in Loop: Header=BB0_217 Depth=2
	s_and_saveexec_b32 s22, s21
	s_cbranch_execz .LBB0_280
; %bb.277:                              ;   in Loop: Header=BB0_217 Depth=2
	s_or_b32 s9, vcc_lo, s9
	s_delay_alu instid0(SALU_CYCLE_1)
	s_and_saveexec_b32 s21, s9
; %bb.278:                              ;   in Loop: Header=BB0_217 Depth=2
	v_cmp_gt_f16_e64 s10, v41, v4
	v_cmp_lt_u16_e64 s9, 0x7c00, v52
	s_delay_alu instid0(VALU_DEP_2)
	v_cndmask_b32_e64 v4, v41, v4, s10
	s_and_b32 s9, vcc_lo, s9
	s_delay_alu instid0(VALU_DEP_1) | instid1(SALU_CYCLE_1)
	v_cndmask_b32_e64 v41, v4, 0x7fff, s9
; %bb.279:                              ;   in Loop: Header=BB0_217 Depth=2
	s_or_b32 exec_lo, exec_lo, s21
	s_delay_alu instid0(VALU_DEP_1)
	v_mov_b32_e32 v4, v41
.LBB0_280:                              ;   in Loop: Header=BB0_217 Depth=2
	s_or_b32 exec_lo, exec_lo, s22
.LBB0_281:                              ;   in Loop: Header=BB0_217 Depth=2
	s_delay_alu instid0(SALU_CYCLE_1) | instskip(SKIP_2) | instid1(SALU_CYCLE_1)
	s_or_b32 exec_lo, exec_lo, s11
	v_cmp_lt_u32_e32 vcc_lo, 3, v1
	s_and_b32 s9, s8, vcc_lo
	v_cndmask_b32_e64 v52, 0, 1, s9
	s_delay_alu instid0(VALU_DEP_1)
	v_cmp_ne_u32_e64 s9, 0, v52
	s_cmp_lg_u32 s9, exec_lo
	s_mov_b32 s9, -1
	s_cbranch_scc0 .LBB0_289
; %bb.282:                              ;   in Loop: Header=BB0_217 Depth=2
	s_mov_b32 s10, exec_lo
	flat_store_b16 v[18:19], v3
	s_wait_xcnt 0x0
	v_cmpx_ne_u32_e32 1, v1
	s_cbranch_execz .LBB0_284
; %bb.283:                              ;   in Loop: Header=BB0_217 Depth=2
	flat_store_b16 v[18:19], v2 offset:2
.LBB0_284:                              ;   in Loop: Header=BB0_217 Depth=2
	s_wait_xcnt 0x0
	s_or_b32 exec_lo, exec_lo, s10
	s_delay_alu instid0(SALU_CYCLE_1)
	s_mov_b32 s10, exec_lo
	v_cmpx_lt_u32_e32 2, v1
	s_cbranch_execz .LBB0_286
; %bb.285:                              ;   in Loop: Header=BB0_217 Depth=2
	flat_store_b16 v[18:19], v5 offset:4
.LBB0_286:                              ;   in Loop: Header=BB0_217 Depth=2
	s_wait_xcnt 0x0
	s_or_b32 exec_lo, exec_lo, s10
	s_and_saveexec_b32 s9, vcc_lo
	s_cbranch_execz .LBB0_288
; %bb.287:                              ;   in Loop: Header=BB0_217 Depth=2
	flat_store_b16 v[18:19], v4 offset:6
.LBB0_288:                              ;   in Loop: Header=BB0_217 Depth=2
	s_wait_xcnt 0x0
	s_or_b32 exec_lo, exec_lo, s9
	s_mov_b32 s9, 0
.LBB0_289:                              ;   in Loop: Header=BB0_217 Depth=2
	s_delay_alu instid0(SALU_CYCLE_1)
	s_and_b32 vcc_lo, exec_lo, s9
	s_cbranch_vccz .LBB0_216
; %bb.290:                              ;   in Loop: Header=BB0_217 Depth=2
	v_dual_lshlrev_b32 v2, 16, v2 :: v_dual_lshlrev_b32 v4, 16, v4
	v_and_b32_e32 v3, 0xffff, v3
	v_and_b32_e32 v5, 0xffff, v5
	s_delay_alu instid0(VALU_DEP_2) | instskip(NEXT) | instid1(VALU_DEP_2)
	v_or_b32_e32 v2, v2, v3
	v_or3_b32 v3, v4, v5, 0
	s_delay_alu instid0(VALU_DEP_2)
	v_or3_b32 v2, 0, 0, v2
	global_store_b64 v[18:19], v[2:3], off
	s_branch .LBB0_216
.LBB0_291:                              ;   in Loop: Header=BB0_36 Depth=1
	s_or_b32 exec_lo, exec_lo, s20
	s_delay_alu instid0(SALU_CYCLE_1)
	s_or_b32 exec_lo, exec_lo, s12
	s_and_saveexec_b32 s9, s3
	s_cbranch_execz .LBB0_214
.LBB0_292:                              ;   in Loop: Header=BB0_36 Depth=1
	s_and_saveexec_b32 s10, s4
	s_delay_alu instid0(SALU_CYCLE_1)
	s_xor_b32 s10, exec_lo, s10
	s_cbranch_execz .LBB0_307
; %bb.293:                              ;   in Loop: Header=BB0_36 Depth=1
	s_and_saveexec_b32 s11, s5
	s_cbranch_execz .LBB0_306
; %bb.294:                              ;   in Loop: Header=BB0_36 Depth=1
	s_mov_b32 s20, exec_lo
	s_mov_b32 s12, exec_lo
	v_mbcnt_lo_u32_b32 v1, s20, 0
	global_wb scope:SCOPE_DEV
	s_wait_storecnt 0x0
	s_wait_loadcnt_dscnt 0x0
	global_inv scope:SCOPE_DEV
	v_cmpx_eq_u32_e32 0, v1
	s_cbranch_execz .LBB0_296
; %bb.295:                              ;   in Loop: Header=BB0_36 Depth=1
	s_bcnt1_i32_b32 s20, s20
	s_delay_alu instid0(SALU_CYCLE_1)
	v_mov_b32_e32 v52, s20
	s_wait_loadcnt 0x0
	ds_add_u64 v0, v[52:53]
	s_trap 2
.LBB0_296:                              ;   in Loop: Header=BB0_36 Depth=1
	s_or_b32 exec_lo, exec_lo, s12
	s_trap 2
	ds_load_b64 v[2:3], v0
	s_wait_dscnt 0x0
	v_add_nc_u64_e32 v[64:65], v[64:65], v[82:83]
	s_mov_b32 s12, exec_lo
	s_delay_alu instid0(VALU_DEP_1)
	v_cmpx_lt_u64_e64 v[2:3], v[64:65]
	s_cbranch_execz .LBB0_305
; %bb.297:                              ;   in Loop: Header=BB0_36 Depth=1
	s_mov_b32 s20, 0
	s_mov_b32 s23, 0
                                        ; implicit-def: $sgpr21
                                        ; implicit-def: $sgpr22
	s_branch .LBB0_299
.LBB0_298:                              ;   in Loop: Header=BB0_299 Depth=2
	s_or_b32 exec_lo, exec_lo, s25
	s_delay_alu instid0(SALU_CYCLE_1) | instskip(NEXT) | instid1(SALU_CYCLE_1)
	s_and_b32 s24, exec_lo, s26
	s_or_b32 s20, s24, s20
	s_and_not1_b32 s21, s21, exec_lo
	s_and_b32 s24, s22, exec_lo
	s_delay_alu instid0(SALU_CYCLE_1)
	s_or_b32 s21, s21, s24
	s_and_not1_b32 exec_lo, exec_lo, s20
	s_cbranch_execz .LBB0_303
.LBB0_299:                              ;   Parent Loop BB0_36 Depth=1
                                        ; =>  This Inner Loop Header: Depth=2
	s_add_co_i32 s23, s23, 1
	s_delay_alu instid0(SALU_CYCLE_1) | instskip(SKIP_1) | instid1(SALU_CYCLE_1)
	s_cmp_lg_u32 s23, 0x2710
	s_cselect_b32 s24, -1, 0
	s_and_b32 vcc_lo, exec_lo, s24
	s_cbranch_vccz .LBB0_301
; %bb.300:                              ;   in Loop: Header=BB0_299 Depth=2
	s_mov_b32 s26, -1
	s_or_b32 s22, s22, exec_lo
	s_and_saveexec_b32 s25, s24
	s_cbranch_execz .LBB0_298
	s_branch .LBB0_302
.LBB0_301:                              ;   in Loop: Header=BB0_299 Depth=2
	s_trap 2
	ds_load_b64 v[2:3], v0
	s_and_not1_b32 s24, s24, exec_lo
	s_mov_b32 s23, 0
	s_wait_loadcnt_dscnt 0x0
	flat_load_b32 v1, v[2:3] scope:SCOPE_SYS
	s_wait_loadcnt_dscnt 0x0
	global_inv scope:SCOPE_SYS
	v_cmp_eq_u32_e32 vcc_lo, 0, v1
	s_and_b32 s25, vcc_lo, exec_lo
	s_delay_alu instid0(SALU_CYCLE_1)
	s_or_b32 s24, s24, s25
	s_mov_b32 s26, -1
	s_or_b32 s22, s22, exec_lo
	s_and_saveexec_b32 s25, s24
	s_cbranch_execz .LBB0_298
.LBB0_302:                              ;   in Loop: Header=BB0_299 Depth=2
	s_sleep 1
	s_trap 2
	ds_load_b64 v[2:3], v0
	s_wait_dscnt 0x0
	s_and_not1_b32 s22, s22, exec_lo
	v_cmp_ge_u64_e32 vcc_lo, v[2:3], v[64:65]
	s_or_not1_b32 s26, vcc_lo, exec_lo
	s_branch .LBB0_298
.LBB0_303:                              ;   in Loop: Header=BB0_36 Depth=1
	s_or_b32 exec_lo, exec_lo, s20
	s_and_saveexec_b32 s20, s21
	s_delay_alu instid0(SALU_CYCLE_1)
	s_xor_b32 s20, exec_lo, s20
	s_cbranch_execz .LBB0_305
; %bb.304:                              ;   in Loop: Header=BB0_36 Depth=1
	ds_store_b32 v0, v60
	s_trap 2
.LBB0_305:                              ;   in Loop: Header=BB0_36 Depth=1
	s_or_b32 exec_lo, exec_lo, s12
	;;#ASMSTART
	s_wakeup
	;;#ASMEND
.LBB0_306:                              ;   in Loop: Header=BB0_36 Depth=1
	s_or_b32 exec_lo, exec_lo, s11
.LBB0_307:                              ;   in Loop: Header=BB0_36 Depth=1
	s_and_not1_saveexec_b32 s10, s10
	s_cbranch_execz .LBB0_309
; %bb.308:                              ;   in Loop: Header=BB0_36 Depth=1
	global_wb scope:SCOPE_DEV
	s_wait_storecnt 0x0
	s_wait_loadcnt_dscnt 0x0
	global_inv scope:SCOPE_DEV
	s_barrier_signal -1
	s_barrier_wait -1
.LBB0_309:                              ;   in Loop: Header=BB0_36 Depth=1
	s_or_b32 exec_lo, exec_lo, s10
	s_delay_alu instid0(SALU_CYCLE_1)
	s_or_b32 exec_lo, exec_lo, s9
	s_and_saveexec_b32 s9, s7
	s_cbranch_execz .LBB0_35
.LBB0_310:                              ;   in Loop: Header=BB0_36 Depth=1
	v_add_nc_u64_e32 v[38:39], 1, v[38:39]
	global_wb scope:SCOPE_SYS
	s_wait_storecnt 0x0
	s_wait_loadcnt_dscnt 0x0
	flat_store_b64 v[50:51], v[38:39] scope:SCOPE_SYS
	s_branch .LBB0_35
.LBB0_311:
	s_or_b32 exec_lo, exec_lo, s18
	s_delay_alu instid0(SALU_CYCLE_1)
	s_or_b32 exec_lo, exec_lo, s16
	s_and_saveexec_b32 s1, s13
	s_cbranch_execz .LBB0_20
.LBB0_312:
	s_wait_dscnt 0x0
	flat_store_b64 v[28:29], v[38:39] offset:104
	s_wait_xcnt 0x0
	s_or_b32 exec_lo, exec_lo, s1
	s_and_saveexec_b32 s1, s0
	s_cbranch_execnz .LBB0_21
	s_branch .LBB0_22
.LBB0_313:
	s_or_b32 exec_lo, exec_lo, s4
	s_and_saveexec_b32 s4, s5
	s_delay_alu instid0(SALU_CYCLE_1)
	s_xor_b32 s4, exec_lo, s4
	s_cbranch_execz .LBB0_315
; %bb.314:
	v_mov_b32_e32 v0, 1
	ds_store_b32 v0, v0
	s_trap 2
.LBB0_315:
	s_or_b32 exec_lo, exec_lo, s3
	;;#ASMSTART
	s_wakeup
	;;#ASMEND
.LBB0_316:
	s_or_b32 exec_lo, exec_lo, s2
.LBB0_317:
	s_and_not1_saveexec_b32 s1, s1
	s_cbranch_execz .LBB0_319
; %bb.318:
	global_wb scope:SCOPE_DEV
	s_wait_storecnt 0x0
	s_wait_loadcnt_dscnt 0x0
	global_inv scope:SCOPE_DEV
	s_barrier_signal -1
	s_barrier_wait -1
.LBB0_319:
	s_or_b32 exec_lo, exec_lo, s0
	s_clause 0x15
	scratch_load_b32 v77, off, s32
	scratch_load_b32 v76, off, s32 offset:4
	scratch_load_b32 v75, off, s32 offset:8
	;; [unrolled: 1-line block ×21, first 2 shown]
	s_wait_loadcnt_dscnt 0x0
	s_set_pc_i64 s[30:31]
.Lfunc_end0:
	.size	_ZN12_GLOBAL__N_17runRingI6__half10FuncMinMaxIS1_E7ProtoLLLi0ELi1ELi0EEEviiP15ncclDevWorkColl, .Lfunc_end0-_ZN12_GLOBAL__N_17runRingI6__half10FuncMinMaxIS1_E7ProtoLLLi0ELi1ELi0EEEviiP15ncclDevWorkColl
                                        ; -- End function
	.set .L_ZN12_GLOBAL__N_17runRingI6__half10FuncMinMaxIS1_E7ProtoLLLi0ELi1ELi0EEEviiP15ncclDevWorkColl.num_vgpr, 120
	.set .L_ZN12_GLOBAL__N_17runRingI6__half10FuncMinMaxIS1_E7ProtoLLLi0ELi1ELi0EEEviiP15ncclDevWorkColl.num_agpr, 0
	.set .L_ZN12_GLOBAL__N_17runRingI6__half10FuncMinMaxIS1_E7ProtoLLLi0ELi1ELi0EEEviiP15ncclDevWorkColl.numbered_sgpr, 41
	.set .L_ZN12_GLOBAL__N_17runRingI6__half10FuncMinMaxIS1_E7ProtoLLLi0ELi1ELi0EEEviiP15ncclDevWorkColl.num_named_barrier, 0
	.set .L_ZN12_GLOBAL__N_17runRingI6__half10FuncMinMaxIS1_E7ProtoLLLi0ELi1ELi0EEEviiP15ncclDevWorkColl.private_seg_size, 92
	.set .L_ZN12_GLOBAL__N_17runRingI6__half10FuncMinMaxIS1_E7ProtoLLLi0ELi1ELi0EEEviiP15ncclDevWorkColl.uses_vcc, 1
	.set .L_ZN12_GLOBAL__N_17runRingI6__half10FuncMinMaxIS1_E7ProtoLLLi0ELi1ELi0EEEviiP15ncclDevWorkColl.uses_flat_scratch, 1
	.set .L_ZN12_GLOBAL__N_17runRingI6__half10FuncMinMaxIS1_E7ProtoLLLi0ELi1ELi0EEEviiP15ncclDevWorkColl.has_dyn_sized_stack, 0
	.set .L_ZN12_GLOBAL__N_17runRingI6__half10FuncMinMaxIS1_E7ProtoLLLi0ELi1ELi0EEEviiP15ncclDevWorkColl.has_recursion, 0
	.set .L_ZN12_GLOBAL__N_17runRingI6__half10FuncMinMaxIS1_E7ProtoLLLi0ELi1ELi0EEEviiP15ncclDevWorkColl.has_indirect_call, 0
	.section	.AMDGPU.csdata,"",@progbits
; Function info:
; codeLenInByte = 10432
; TotalNumSgprs: 43
; NumVgprs: 120
; ScratchSize: 92
; MemoryBound: 0
	.text
	.p2align	2                               ; -- Begin function _Z50ncclDevFunc_ReduceScatter_RING_LL_MinMax_f16_0_0_1v
	.type	_Z50ncclDevFunc_ReduceScatter_RING_LL_MinMax_f16_0_0_1v,@function
_Z50ncclDevFunc_ReduceScatter_RING_LL_MinMax_f16_0_0_1v: ; @_Z50ncclDevFunc_ReduceScatter_RING_LL_MinMax_f16_0_0_1v
; %bb.0:
	s_wait_loadcnt_dscnt 0x0
	s_wait_kmcnt 0x0
	s_mov_b32 s56, s33
	s_mov_b32 s33, s32
	s_or_saveexec_b32 s0, -1
	scratch_store_b32 off, v41, s33 offset:4 ; 4-byte Folded Spill
	s_wait_xcnt 0x0
	s_mov_b32 exec_lo, s0
	s_add_co_i32 s32, s32, 16
	scratch_store_b32 off, v40, s33         ; 4-byte Folded Spill
	v_writelane_b32 v41, s30, 0
	v_writelane_b32 v41, s31, 1
	s_trap 2
	ds_load_b32 v0, v0
	s_wait_xcnt 0x0
	v_and_b32_e32 v40, 0x3ff, v31
	s_mov_b32 s41, s12
	s_mov_b64 s[42:43], s[8:9]
	s_mov_b32 s2, exec_lo
	s_wait_dscnt 0x0
	v_cmpx_lt_i32_e64 v40, v0
	s_cbranch_execz .LBB1_5
; %bb.1:
	s_load_b32 s0, s[42:43], 0x0
	s_bfe_u32 s1, ttmp6, 0x4000c
	s_and_b32 s3, ttmp6, 15
	s_add_co_i32 s1, s1, 1
	s_getreg_b32 s4, hwreg(HW_REG_IB_STS2, 6, 4)
	s_mul_i32 s1, ttmp9, s1
	v_mov_b32_e32 v2, v40
	s_add_co_i32 s3, s3, s1
	s_cmp_eq_u32 s4, 0
                                        ; implicit-def: $vgpr3
	s_cselect_b32 s1, ttmp9, s3
	s_mov_b32 s3, 0
	s_wait_kmcnt 0x0
	s_cmp_lt_u32 s1, s0
	s_mov_b32 s1, 0
	s_cselect_b32 s0, 12, 18
	s_delay_alu instid0(SALU_CYCLE_1)
	s_add_nc_u64 s[4:5], s[42:43], s[0:1]
	s_load_u16 s0, s[4:5], 0x0
	s_trap 2
	ds_load_b32 v1, v0
	s_wait_dscnt 0x0
	s_wait_kmcnt 0x0
	v_mul_lo_u32 v1, v1, s0
	s_branch .LBB1_3
.LBB1_2:                                ;   in Loop: Header=BB1_3 Depth=1
	s_or_b32 exec_lo, exec_lo, s4
	v_dual_add_nc_u32 v2, s0, v2 :: v_dual_add_nc_u32 v3, v3, v1
	s_delay_alu instid0(VALU_DEP_1) | instskip(SKIP_1) | instid1(SALU_CYCLE_1)
	v_cmp_ge_i32_e32 vcc_lo, v2, v0
	s_or_b32 s3, vcc_lo, s3
	s_and_not1_b32 exec_lo, exec_lo, s3
	s_cbranch_execz .LBB1_5
.LBB1_3:                                ; =>This Inner Loop Header: Depth=1
	ds_load_b32 v4, v3
	s_mov_b32 s4, exec_lo
	s_wait_dscnt 0x0
	v_and_b32_e32 v4, 0x1000000, v4
	s_delay_alu instid0(VALU_DEP_1)
	v_cmpx_ne_u32_e32 0, v4
	s_cbranch_execz .LBB1_2
; %bb.4:                                ;   in Loop: Header=BB1_3 Depth=1
	ds_load_b64 v[4:5], v3 offset:104
	s_wait_dscnt 0x0
	flat_load_u16 v4, v[4:5]
	s_wait_xcnt 0x0
	v_mov_b32_e32 v5, s1
	s_wait_loadcnt_dscnt 0x0
	v_and_b32_e32 v4, 0xffff, v4
	ds_store_b64 v3, v[4:5] offset:104
	s_branch .LBB1_2
.LBB1_5:
	s_or_b32 exec_lo, exec_lo, s2
	s_wait_storecnt_dscnt 0x0
	s_barrier_signal -1
	s_barrier_wait -1
	s_trap 2
	ds_load_b32 v0, v0
	s_wait_dscnt 0x0
	v_cmp_gt_i32_e32 vcc_lo, 1, v0
	s_cbranch_vccnz .LBB1_13
; %bb.6:
	s_mov_b32 s46, 0
	s_get_pc_i64 s[44:45]
	s_add_nc_u64 s[44:45], s[44:45], _ZN12_GLOBAL__N_17runRingI6__half10FuncMinMaxIS1_E7ProtoLLLi0ELi1ELi0EEEviiP15ncclDevWorkColl@rel64+4
	s_branch .LBB1_8
.LBB1_7:                                ;   in Loop: Header=BB1_8 Depth=1
	s_or_b32 exec_lo, exec_lo, s47
	s_trap 2
	ds_load_b32 v0, v0
	s_add_co_i32 s46, s46, 1
	s_wait_dscnt 0x0
	v_cmp_lt_i32_e32 vcc_lo, s46, v0
	s_cbranch_vccz .LBB1_13
.LBB1_8:                                ; =>This Inner Loop Header: Depth=1
	s_trap 2
	ds_load_b32 v0, v0
	s_cmp_eq_u32 s46, 0
	s_cbranch_scc1 .LBB1_11
; %bb.9:                                ;   in Loop: Header=BB1_8 Depth=1
	s_trap 2
	s_wait_dscnt 0x0
	ds_load_b32 v1, v0
	s_wait_dscnt 0x0
	v_xor_b32_e32 v1, v1, v0
	s_delay_alu instid0(VALU_DEP_1) | instskip(NEXT) | instid1(VALU_DEP_1)
	v_and_b32_e32 v1, 0xff0000, v1
	v_cmp_eq_u32_e32 vcc_lo, 0, v1
	s_cbranch_vccnz .LBB1_11
; %bb.10:                               ;   in Loop: Header=BB1_8 Depth=1
	s_barrier_signal -1
	s_barrier_wait -1
	ds_load_b32 v0, v0
.LBB1_11:                               ;   in Loop: Header=BB1_8 Depth=1
	s_wait_dscnt 0x0
	v_lshrrev_b32_e32 v0, 11, v0
	s_mov_b32 s47, exec_lo
	s_delay_alu instid0(VALU_DEP_1) | instskip(NEXT) | instid1(VALU_DEP_1)
	v_and_b32_e32 v1, 0x1fe0, v0
	v_cmpx_lt_u32_e64 v40, v1
	s_cbranch_execz .LBB1_7
; %bb.12:                               ;   in Loop: Header=BB1_8 Depth=1
	s_mov_b64 s[0:1], src_shared_base
	s_delay_alu instid0(SALU_CYCLE_1)
	v_dual_mov_b32 v0, v40 :: v_dual_mov_b32 v3, s1
	s_mov_b64 s[8:9], s[42:43]
	s_mov_b32 s12, s41
	s_swap_pc_i64 s[30:31], s[44:45]
	s_branch .LBB1_7
.LBB1_13:
	scratch_load_b32 v40, off, s33          ; 4-byte Folded Reload
	v_readlane_b32 s30, v41, 0
	v_readlane_b32 s31, v41, 1
	s_mov_b32 s32, s33
	s_wait_xcnt 0x0
	s_or_saveexec_b32 s0, -1
	scratch_load_b32 v41, off, s33 offset:4 ; 4-byte Folded Reload
	s_wait_xcnt 0x0
	s_mov_b32 exec_lo, s0
	s_mov_b32 s33, s56
	s_wait_loadcnt 0x0
	s_set_pc_i64 s[30:31]
.Lfunc_end1:
	.size	_Z50ncclDevFunc_ReduceScatter_RING_LL_MinMax_f16_0_0_1v, .Lfunc_end1-_Z50ncclDevFunc_ReduceScatter_RING_LL_MinMax_f16_0_0_1v
                                        ; -- End function
	.set .L_Z50ncclDevFunc_ReduceScatter_RING_LL_MinMax_f16_0_0_1v.num_vgpr, max(42, .L_ZN12_GLOBAL__N_17runRingI6__half10FuncMinMaxIS1_E7ProtoLLLi0ELi1ELi0EEEviiP15ncclDevWorkColl.num_vgpr)
	.set .L_Z50ncclDevFunc_ReduceScatter_RING_LL_MinMax_f16_0_0_1v.num_agpr, max(0, .L_ZN12_GLOBAL__N_17runRingI6__half10FuncMinMaxIS1_E7ProtoLLLi0ELi1ELi0EEEviiP15ncclDevWorkColl.num_agpr)
	.set .L_Z50ncclDevFunc_ReduceScatter_RING_LL_MinMax_f16_0_0_1v.numbered_sgpr, max(57, .L_ZN12_GLOBAL__N_17runRingI6__half10FuncMinMaxIS1_E7ProtoLLLi0ELi1ELi0EEEviiP15ncclDevWorkColl.numbered_sgpr)
	.set .L_Z50ncclDevFunc_ReduceScatter_RING_LL_MinMax_f16_0_0_1v.num_named_barrier, max(0, .L_ZN12_GLOBAL__N_17runRingI6__half10FuncMinMaxIS1_E7ProtoLLLi0ELi1ELi0EEEviiP15ncclDevWorkColl.num_named_barrier)
	.set .L_Z50ncclDevFunc_ReduceScatter_RING_LL_MinMax_f16_0_0_1v.private_seg_size, 16+max(.L_ZN12_GLOBAL__N_17runRingI6__half10FuncMinMaxIS1_E7ProtoLLLi0ELi1ELi0EEEviiP15ncclDevWorkColl.private_seg_size)
	.set .L_Z50ncclDevFunc_ReduceScatter_RING_LL_MinMax_f16_0_0_1v.uses_vcc, or(1, .L_ZN12_GLOBAL__N_17runRingI6__half10FuncMinMaxIS1_E7ProtoLLLi0ELi1ELi0EEEviiP15ncclDevWorkColl.uses_vcc)
	.set .L_Z50ncclDevFunc_ReduceScatter_RING_LL_MinMax_f16_0_0_1v.uses_flat_scratch, or(0, .L_ZN12_GLOBAL__N_17runRingI6__half10FuncMinMaxIS1_E7ProtoLLLi0ELi1ELi0EEEviiP15ncclDevWorkColl.uses_flat_scratch)
	.set .L_Z50ncclDevFunc_ReduceScatter_RING_LL_MinMax_f16_0_0_1v.has_dyn_sized_stack, or(0, .L_ZN12_GLOBAL__N_17runRingI6__half10FuncMinMaxIS1_E7ProtoLLLi0ELi1ELi0EEEviiP15ncclDevWorkColl.has_dyn_sized_stack)
	.set .L_Z50ncclDevFunc_ReduceScatter_RING_LL_MinMax_f16_0_0_1v.has_recursion, or(1, .L_ZN12_GLOBAL__N_17runRingI6__half10FuncMinMaxIS1_E7ProtoLLLi0ELi1ELi0EEEviiP15ncclDevWorkColl.has_recursion)
	.set .L_Z50ncclDevFunc_ReduceScatter_RING_LL_MinMax_f16_0_0_1v.has_indirect_call, or(0, .L_ZN12_GLOBAL__N_17runRingI6__half10FuncMinMaxIS1_E7ProtoLLLi0ELi1ELi0EEEviiP15ncclDevWorkColl.has_indirect_call)
	.section	.AMDGPU.csdata,"",@progbits
; Function info:
; codeLenInByte = 684
; TotalNumSgprs: 59
; NumVgprs: 120
; ScratchSize: 108
; MemoryBound: 0
	.text
	.p2align	2                               ; -- Begin function _ZN12_GLOBAL__N_17runRingI6__half10FuncMinMaxIS1_E7ProtoLLLi0ELi2ELi0EEEviiP15ncclDevWorkColl
	.type	_ZN12_GLOBAL__N_17runRingI6__half10FuncMinMaxIS1_E7ProtoLLLi0ELi2ELi0EEEviiP15ncclDevWorkColl,@function
_ZN12_GLOBAL__N_17runRingI6__half10FuncMinMaxIS1_E7ProtoLLLi0ELi2ELi0EEEviiP15ncclDevWorkColl: ; @_ZN12_GLOBAL__N_17runRingI6__half10FuncMinMaxIS1_E7ProtoLLLi0ELi2ELi0EEEviiP15ncclDevWorkColl
; %bb.0:
	s_wait_loadcnt_dscnt 0x0
	s_wait_kmcnt 0x0
	s_clause 0x15
	scratch_store_b32 off, v40, s32 offset:84
	; meta instruction
	scratch_store_b32 off, v41, s32 offset:80
	; meta instruction
	;; [unrolled: 2-line block ×21, first 2 shown]
	scratch_store_b32 off, v77, s32
	s_trap 2
	s_clause 0x2
	flat_load_b32 v12, v[2:3]
	flat_load_b128 v[4:7], v[2:3] offset:72
	flat_load_b64 v[70:71], v[2:3] offset:88
	v_mov_b32_e32 v20, v1
	ds_load_b32 v8, v0
	ds_load_b64 v[22:23], v0
	s_mov_b32 s0, exec_lo
                                        ; implicit-def: $vgpr18_vgpr19
                                        ; implicit-def: $vgpr24_vgpr25
	s_wait_dscnt 0x1
	v_readfirstlane_b32 s14, v8
	s_wait_loadcnt 0x2
	v_bfe_u32 v9, v12, 8, 8
	v_bitop3_b32 v1, v12, 0xff, v12 bitop3:0x3f
	s_delay_alu instid0(VALU_DEP_1) | instskip(NEXT) | instid1(VALU_DEP_1)
	v_add_nc_u32_e32 v10, v9, v1
	v_ashrrev_i32_e32 v11, 31, v10
	s_wait_loadcnt 0x1
	s_delay_alu instid0(VALU_DEP_1) | instskip(SKIP_2) | instid1(VALU_DEP_1)
	v_mul_u64_e32 v[68:69], v[6:7], v[10:11]
	v_and_b32_e32 v10, 0xff, v12
	s_wait_xcnt 0x0
	v_cmpx_ne_u32_e64 v8, v10
	s_xor_b32 s0, exec_lo, s0
	s_cbranch_execz .LBB2_6
; %bb.1:
	s_mov_b32 s1, exec_lo
                                        ; implicit-def: $vgpr18_vgpr19
                                        ; implicit-def: $vgpr24_vgpr25
	v_cmpx_ne_u32_e64 v8, v9
	s_xor_b32 s1, exec_lo, s1
	s_cbranch_execz .LBB2_3
; %bb.2:
	flat_load_b64 v[10:11], v[2:3] offset:96
	v_add_nc_u32_e32 v1, v8, v1
	s_delay_alu instid0(VALU_DEP_1) | instskip(NEXT) | instid1(VALU_DEP_1)
	v_mad_nc_u64_u32 v[24:25], v6, v1, v[4:5]
	v_mad_u32 v8, v7, v1, v25
	v_ashrrev_i32_e32 v1, 31, v1
	s_delay_alu instid0(VALU_DEP_1)
	v_mad_u32 v25, v6, v1, v8
	s_wait_loadcnt_dscnt 0x0
	v_lshrrev_b64 v[18:19], 18, v[10:11]
.LBB2_3:
	s_wait_xcnt 0x0
	s_and_not1_saveexec_b32 s1, s1
	s_cbranch_execz .LBB2_5
; %bb.4:
	flat_load_b32 v1, v[2:3] offset:100
	v_add_nc_u64_e32 v[24:25], v[68:69], v[4:5]
	s_wait_loadcnt 0x1
	v_mov_b64_e32 v[6:7], v[70:71]
	s_wait_loadcnt_dscnt 0x0
	v_lshrrev_b32_e32 v18, 7, v1
.LBB2_5:
	s_wait_xcnt 0x0
	s_or_b32 exec_lo, exec_lo, s1
.LBB2_6:
	s_and_not1_saveexec_b32 s0, s0
	s_cbranch_execz .LBB2_8
; %bb.7:
	flat_load_b64 v[6:7], v[2:3] offset:96
	v_mov_b64_e32 v[24:25], 0
	s_wait_loadcnt_dscnt 0x0
	v_lshlrev_b64_e32 v[18:19], 3, v[6:7]
	v_mov_b64_e32 v[6:7], v[4:5]
.LBB2_8:
	s_wait_xcnt 0x0
	s_or_b32 exec_lo, exec_lo, s0
	s_load_b32 s0, s[8:9], 0x0
	s_clause 0x2
	flat_load_b64 v[84:85], v[2:3] offset:104
	flat_load_u16 v13, v[2:3] offset:8
	flat_load_b32 v12, v[2:3] offset:4
	s_bfe_u32 s1, ttmp6, 0x4000c
	s_and_b32 s2, ttmp6, 15
	s_add_co_i32 s1, s1, 1
	s_getreg_b32 s3, hwreg(HW_REG_IB_STS2, 6, 4)
	s_mul_i32 s1, ttmp9, s1
	v_mov_b32_e32 v14, 0
	s_add_co_i32 s2, s2, s1
	s_cmp_eq_u32 s3, 0
	s_mov_b32 s1, 0
	s_cselect_b32 s2, ttmp9, s2
	v_mov_b64_e32 v[26:27], 0
	s_wait_kmcnt 0x0
	s_cmp_lt_u32 s2, s0
	s_cselect_b32 s0, 12, 18
	s_delay_alu instid0(SALU_CYCLE_1)
	s_add_nc_u64 s[2:3], s[8:9], s[0:1]
	flat_load_b128 v[8:11], v[2:3] offset:16
	global_load_u16 v1, v14, s[2:3]
	s_trap 2
	s_wait_xcnt 0x1
	ds_load_b32 v2, v0
	s_wait_dscnt 0x0
	v_cmp_gt_i32_e32 vcc_lo, 0, v2
	s_wait_xcnt 0x0
	v_readfirstlane_b32 s2, v2
	s_and_b32 vcc_lo, exec_lo, vcc_lo
	s_wait_loadcnt 0x2
	v_lshrrev_b64 v[14:15], 31, v[12:13]
	v_and_b32_e32 v12, 31, v0
	s_delay_alu instid0(VALU_DEP_1) | instskip(NEXT) | instid1(VALU_DEP_3)
	v_cmp_eq_u32_e64 s0, 0, v12
	v_and_b32_e32 v3, 3, v14
	s_delay_alu instid0(VALU_DEP_1)
	v_and_b32_e32 v13, 0xffff, v3
	s_cbranch_vccnz .LBB2_10
; %bb.9:
	s_trap 2
	ds_load_b64 v[14:15], v0
	s_mov_b32 s1, 1
	s_wait_dscnt 0x0
	v_readfirstlane_b32 s4, v14
	v_readfirstlane_b32 s5, v15
	flat_load_b64 v[2:3], v2, s[4:5] scale_offset
	s_wait_loadcnt_dscnt 0x0
	v_mad_nc_u64_u32 v[2:3], 0xa8, v13, v[2:3]
	s_clause 0x1
	flat_load_b64 v[32:33], v[2:3] offset:504
	flat_load_b64 v[34:35], v[2:3] offset:608
	v_add_nc_u64_e32 v[28:29], 0x1f8, v[2:3]
	s_wait_xcnt 0x0
	s_delay_alu instid0(VALU_DEP_1)
	v_dual_cndmask_b32 v3, 0, v29, s0 :: v_dual_cndmask_b32 v2, 0, v28, s0
	s_branch .LBB2_11
.LBB2_10:
	v_mov_b64_e32 v[28:29], 0
	v_mov_b64_e32 v[2:3], 0
                                        ; implicit-def: $vgpr34_vgpr35
                                        ; implicit-def: $vgpr32_vgpr33
.LBB2_11:
	s_trap 2
	ds_load_b32 v14, v0
	s_wait_dscnt 0x0
	v_cmp_gt_i32_e32 vcc_lo, 0, v14
	s_cbranch_vccnz .LBB2_13
; %bb.12:
	s_trap 2
	ds_load_b64 v[16:17], v0
	v_cmp_eq_u32_e32 vcc_lo, 0, v12
	s_wait_dscnt 0x0
	v_readfirstlane_b32 s4, v16
	v_readfirstlane_b32 s5, v17
	flat_load_b64 v[14:15], v14, s[4:5] scale_offset
	s_wait_loadcnt_dscnt 0x0
	v_mad_nc_u64_u32 v[26:27], 0xa8, v13, v[14:15]
	s_clause 0x1
	flat_load_b64 v[36:37], v[26:27]
	flat_load_b64 v[16:17], v[26:27] offset:104
	v_dual_cndmask_b32 v53, 0, v27 :: v_dual_cndmask_b32 v52, 0, v26
	s_branch .LBB2_14
.LBB2_13:
	v_mov_b64_e32 v[52:53], 0
                                        ; implicit-def: $vgpr16_vgpr17
                                        ; implicit-def: $vgpr36_vgpr37
.LBB2_14:
	v_subrev_nc_u32_e32 v13, 32, v20
	v_cmp_gt_u32_e32 vcc_lo, s1, v12
	v_mov_b64_e32 v[48:49], 0
	v_mov_b64_e32 v[50:51], 0
                                        ; implicit-def: $vgpr38_vgpr39
	s_delay_alu instid0(VALU_DEP_4)
	v_cmp_ge_i32_e64 s0, v0, v13
	s_and_b32 s13, s0, vcc_lo
	s_wait_xcnt 0x0
	s_and_saveexec_b32 s0, s13
	s_cbranch_execz .LBB2_16
; %bb.15:
	s_clause 0x1
	flat_load_b64 v[50:51], v[2:3] offset:56
	flat_load_b64 v[38:39], v[2:3] offset:104
.LBB2_16:
	s_wait_xcnt 0x0
	s_or_b32 exec_lo, exec_lo, s0
	v_mov_b64_e32 v[12:13], 0
	v_cmp_gt_u32_e64 s0, s1, v0
                                        ; implicit-def: $vgpr54_vgpr55
	s_and_saveexec_b32 s1, s0
	s_cbranch_execz .LBB2_18
; %bb.17:
	flat_load_b64 v[48:49], v[52:53] offset:56
	s_wait_loadcnt_dscnt 0x0
	flat_load_b64 v[54:55], v[48:49] scope:SCOPE_SYS
	s_wait_loadcnt 0x0
	flat_load_b128 v[12:15], v[52:53] offset:96
.LBB2_18:
	s_wait_xcnt 0x0
	s_or_b32 exec_lo, exec_lo, s1
	v_mov_b64_e32 v[64:65], 0
	s_wait_loadcnt 0x0
	v_and_b32_e32 v113, 0xffff, v1
	s_mov_b32 s16, exec_lo
	v_cmpx_ne_u64_e32 0, v[6:7]
	s_cbranch_execnz .LBB2_34
; %bb.19:
	s_or_b32 exec_lo, exec_lo, s16
	s_and_saveexec_b32 s1, s13
	s_cbranch_execnz .LBB2_312
.LBB2_20:
	s_or_b32 exec_lo, exec_lo, s1
	s_and_saveexec_b32 s1, s0
	s_cbranch_execz .LBB2_22
.LBB2_21:
	s_wait_dscnt 0x0
	flat_store_b64 v[26:27], v[14:15] offset:104
.LBB2_22:
	s_wait_xcnt 0x0
	s_or_b32 exec_lo, exec_lo, s1
	s_delay_alu instid0(SALU_CYCLE_1)
	s_mov_b32 s0, exec_lo
	v_cmpx_ne_u32_e32 32, v20
	s_cbranch_execz .LBB2_319
; %bb.23:
	s_mov_b32 s1, exec_lo
	v_cmpx_ne_u32_e64 v20, v113
	s_xor_b32 s1, exec_lo, s1
	s_cbranch_execz .LBB2_317
; %bb.24:
	v_and_b32_e32 v0, 31, v31
	s_mov_b32 s2, exec_lo
	s_delay_alu instid0(VALU_DEP_1)
	v_cmpx_eq_u32_e32 0, v0
	s_cbranch_execz .LBB2_316
; %bb.25:
	s_mov_b32 s4, exec_lo
	s_mov_b32 s3, exec_lo
	v_mbcnt_lo_u32_b32 v0, s4, 0
	global_wb scope:SCOPE_DEV
	s_wait_storecnt 0x0
	s_wait_loadcnt_dscnt 0x0
	global_inv scope:SCOPE_DEV
	v_cmpx_eq_u32_e32 0, v0
	s_cbranch_execz .LBB2_27
; %bb.26:
	s_bcnt1_i32_b32 s4, s4
	s_delay_alu instid0(SALU_CYCLE_1)
	v_dual_mov_b32 v1, 0 :: v_dual_mov_b32 v0, s4
	s_wait_loadcnt 0x0
	ds_add_u64 v0, v[0:1]
	s_trap 2
.LBB2_27:
	s_or_b32 exec_lo, exec_lo, s3
	s_trap 2
	ds_load_b64 v[2:3], v0
	s_wait_dscnt 0x0
	v_dual_mov_b32 v1, 0 :: v_dual_lshrrev_b32 v0, 5, v20
	s_mov_b32 s3, exec_lo
	s_delay_alu instid0(VALU_DEP_1) | instskip(NEXT) | instid1(VALU_DEP_1)
	v_add_nc_u64_e32 v[0:1], v[64:65], v[0:1]
	v_cmpx_lt_u64_e64 v[2:3], v[0:1]
	s_cbranch_execz .LBB2_315
; %bb.28:
	s_mov_b32 s4, 0
	s_mov_b32 s7, 0
                                        ; implicit-def: $sgpr5
                                        ; implicit-def: $sgpr6
	s_branch .LBB2_30
.LBB2_29:                               ;   in Loop: Header=BB2_30 Depth=1
	s_or_b32 exec_lo, exec_lo, s9
	s_delay_alu instid0(SALU_CYCLE_1) | instskip(NEXT) | instid1(SALU_CYCLE_1)
	s_and_b32 s8, exec_lo, s10
	s_or_b32 s4, s8, s4
	s_and_not1_b32 s5, s5, exec_lo
	s_and_b32 s8, s6, exec_lo
	s_delay_alu instid0(SALU_CYCLE_1)
	s_or_b32 s5, s5, s8
	s_and_not1_b32 exec_lo, exec_lo, s4
	s_cbranch_execz .LBB2_313
.LBB2_30:                               ; =>This Inner Loop Header: Depth=1
	s_add_co_i32 s7, s7, 1
	s_delay_alu instid0(SALU_CYCLE_1) | instskip(SKIP_1) | instid1(SALU_CYCLE_1)
	s_cmp_lg_u32 s7, 0x2710
	s_cselect_b32 s8, -1, 0
	s_and_b32 vcc_lo, exec_lo, s8
	s_cbranch_vccz .LBB2_32
; %bb.31:                               ;   in Loop: Header=BB2_30 Depth=1
	s_mov_b32 s10, -1
	s_or_b32 s6, s6, exec_lo
	s_and_saveexec_b32 s9, s8
	s_cbranch_execz .LBB2_29
	s_branch .LBB2_33
.LBB2_32:                               ;   in Loop: Header=BB2_30 Depth=1
	s_trap 2
	ds_load_b64 v[2:3], v0
	s_and_not1_b32 s8, s8, exec_lo
	s_mov_b32 s7, 0
	s_wait_loadcnt_dscnt 0x0
	flat_load_b32 v2, v[2:3] scope:SCOPE_SYS
	s_wait_loadcnt_dscnt 0x0
	global_inv scope:SCOPE_SYS
	v_cmp_eq_u32_e32 vcc_lo, 0, v2
	s_and_b32 s9, vcc_lo, exec_lo
	s_delay_alu instid0(SALU_CYCLE_1)
	s_or_b32 s8, s8, s9
	s_mov_b32 s10, -1
	s_or_b32 s6, s6, exec_lo
	s_and_saveexec_b32 s9, s8
	s_cbranch_execz .LBB2_29
.LBB2_33:                               ;   in Loop: Header=BB2_30 Depth=1
	s_sleep 1
	s_trap 2
	ds_load_b64 v[2:3], v0
	s_wait_dscnt 0x0
	s_and_not1_b32 s6, s6, exec_lo
	v_cmp_ge_u64_e32 vcc_lo, v[2:3], v[0:1]
	s_or_not1_b32 s10, vcc_lo, exec_lo
	s_branch .LBB2_29
.LBB2_34:
	v_add_nc_u64_e32 v[2:3], v[70:71], v[4:5]
	v_dual_mov_b32 v53, 0 :: v_dual_bitop2_b32 v1, 31, v31 bitop3:0x40
	s_ashr_i32 s1, s2, 31
	v_dual_lshlrev_b32 v52, 3, v0 :: v_dual_lshlrev_b32 v30, 2, v0
	s_lshr_b32 s1, s1, 29
	s_delay_alu instid0(VALU_DEP_3) | instskip(SKIP_4) | instid1(VALU_DEP_4)
	v_add_nc_u64_e32 v[68:69], v[2:3], v[68:69]
	v_and_b32_e32 v2, 1, v84
	v_cmp_eq_u32_e64 s5, 0, v1
	v_dual_mov_b32 v1, v53 :: v_dual_mov_b32 v3, v53
	v_mov_b32_e32 v21, v53
	v_cmp_eq_u32_e64 s6, 1, v2
	v_dual_lshlrev_b32 v19, 1, v18 :: v_dual_bitop2_b32 v2, 1, v8 bitop3:0x40
	s_add_co_i32 s2, s2, s1
	s_ashr_i32 s15, s14, 31
	v_mov_b32_e32 v83, v53
	v_lshl_add_u64 v[4:5], v[0:1], 3, v[10:11]
	v_cmp_eq_u64_e64 s8, 0, v[2:3]
	v_lshl_add_u32 v2, v24, 1, v52
	v_lshlrev_b32_e32 v3, 4, v18
	s_ashr_i32 s4, s2, 3
	s_ashr_i32 s17, s2, 7
	s_lshl_b64 s[2:3], s[14:15], 2
	v_mov_b64_e32 v[80:81], 0
	v_add_nc_u64_e32 v[70:71], s[2:3], v[22:23]
	v_cmp_ne_u64_e64 s1, 0, v[48:49]
	s_wait_dscnt 0x0
	v_cmp_ne_u64_e64 s2, 0, v[12:13]
	v_add_nc_u64_e32 v[84:85], v[10:11], v[52:53]
	v_cmp_ne_u64_e64 s7, 0, v[50:51]
	v_add_nc_u64_e32 v[8:9], v[8:9], v[52:53]
	v_lshlrev_b64_e32 v[98:99], 1, v[68:69]
	v_lshlrev_b64_e32 v[100:101], 3, v[20:21]
	;; [unrolled: 1-line block ×3, first 2 shown]
	v_mov_b64_e32 v[64:65], 0
	v_and_b32_e32 v66, 0xfffff8, v18
	v_dual_mov_b32 v67, v53 :: v_dual_lshrrev_b32 v82, 5, v20
	s_and_b32 s15, s4, -16
	v_cmp_ne_u32_e64 s3, 32, v20
	v_cmp_ne_u32_e64 s4, v20, v113
	v_lshl_add_u64 v[86:87], v[24:25], 1, v[4:5]
	v_and_b32_e32 v96, 0x1fffff0, v19
	v_dual_mov_b32 v97, v53 :: v_dual_lshlrev_b32 v58, 4, v68
	v_add_lshl_u32 v56, v2, v10, 3
	v_and_b32_e32 v57, 0xfffff80, v3
	v_dual_mov_b32 v60, 1 :: v_dual_lshlrev_b32 v59, 6, v20
	v_dual_mov_b32 v61, 0 :: v_dual_lshlrev_b32 v112, 2, v20
	v_lshl_add_u64 v[114:115], v[0:1], 4, v[36:37]
	s_cmp_gt_i32 s14, 2
	s_mov_b32 s18, 0
	s_cselect_b32 s19, -1, 0
	s_branch .LBB2_36
.LBB2_35:                               ;   in Loop: Header=BB2_36 Depth=1
	s_wait_xcnt 0x0
	s_or_b32 exec_lo, exec_lo, s9
	v_add_nc_u64_e32 v[80:81], v[80:81], v[66:67]
	v_add_nc_u64_e32 v[34:35], 1, v[34:35]
	;; [unrolled: 1-line block ×3, first 2 shown]
	v_add_nc_u32_e32 v56, v56, v57
	s_delay_alu instid0(VALU_DEP_4) | instskip(SKIP_1) | instid1(SALU_CYCLE_1)
	v_cmp_ge_u64_e32 vcc_lo, v[80:81], v[6:7]
	s_or_b32 s18, vcc_lo, s18
	s_and_not1_b32 exec_lo, exec_lo, s18
	s_cbranch_execz .LBB2_311
.LBB2_36:                               ; =>This Loop Header: Depth=1
                                        ;     Child Loop BB2_41 Depth 2
                                        ;     Child Loop BB2_60 Depth 2
	;; [unrolled: 1-line block ×5, first 2 shown]
                                        ;       Child Loop BB2_90 Depth 3
                                        ;       Child Loop BB2_109 Depth 3
                                        ;       Child Loop BB2_131 Depth 3
                                        ;         Child Loop BB2_139 Depth 4
                                        ;       Child Loop BB2_201 Depth 3
                                        ;       Child Loop BB2_126 Depth 3
                                        ;     Child Loop BB2_217 Depth 2
                                        ;       Child Loop BB2_225 Depth 3
                                        ;     Child Loop BB2_299 Depth 2
	s_wait_loadcnt_dscnt 0x0
	flat_load_b32 v19, v[70:71] offset:-4
	v_sub_nc_u64_e32 v[2:3], v[6:7], v[80:81]
	s_delay_alu instid0(VALU_DEP_1) | instskip(NEXT) | instid1(VALU_DEP_1)
	v_min_u64 v[2:3], v[66:67], v[2:3]
	v_lshl_add_u32 v1, v2, 2, 12
	s_delay_alu instid0(VALU_DEP_1)
	v_and_b32_e32 v21, 0x7fffff0, v1
	s_wait_xcnt 0x0
	s_and_saveexec_b32 s10, s1
	s_cbranch_execz .LBB2_52
; %bb.37:                               ;   in Loop: Header=BB2_36 Depth=1
	v_add_nc_u64_e32 v[4:5], 1, v[14:15]
	v_add_nc_u64_e32 v[116:117], 8, v[54:55]
	s_mov_b32 s11, exec_lo
	s_delay_alu instid0(VALU_DEP_1)
	v_cmpx_lt_u64_e64 v[116:117], v[4:5]
	s_cbranch_execz .LBB2_49
; %bb.38:                               ;   in Loop: Header=BB2_36 Depth=1
	s_mov_b32 s12, 0
	s_mov_b32 s23, 0
	v_cmp_eq_u32_e32 vcc_lo, 0, v61
                                        ; implicit-def: $sgpr20
                                        ; implicit-def: $sgpr21
                                        ; implicit-def: $sgpr22
	s_branch .LBB2_41
.LBB2_39:                               ;   in Loop: Header=BB2_41 Depth=2
	s_or_b32 exec_lo, exec_lo, s28
	s_delay_alu instid0(SALU_CYCLE_1)
	s_and_not1_b32 s9, s22, exec_lo
	s_and_b32 s22, s26, exec_lo
	s_and_not1_b32 s21, s21, exec_lo
	s_and_b32 s25, s25, exec_lo
	s_or_b32 s22, s9, s22
	s_or_b32 s21, s21, s25
.LBB2_40:                               ;   in Loop: Header=BB2_41 Depth=2
	s_or_b32 exec_lo, exec_lo, s24
	s_delay_alu instid0(SALU_CYCLE_1) | instskip(NEXT) | instid1(SALU_CYCLE_1)
	s_and_b32 s9, exec_lo, s21
	s_or_b32 s12, s9, s12
	s_and_not1_b32 s9, s20, exec_lo
	s_and_b32 s20, s22, exec_lo
	s_delay_alu instid0(SALU_CYCLE_1)
	s_or_b32 s20, s9, s20
	s_and_not1_b32 exec_lo, exec_lo, s12
	s_cbranch_execz .LBB2_46
.LBB2_41:                               ;   Parent Loop BB2_36 Depth=1
                                        ; =>  This Inner Loop Header: Depth=2
	s_sleep 1
	s_wait_loadcnt_dscnt 0x0
	flat_load_b64 v[54:55], v[48:49] scope:SCOPE_DEV
	v_mov_b32_e32 v61, 1
	s_or_b32 s22, s22, exec_lo
	s_or_b32 s21, s21, exec_lo
                                        ; implicit-def: $vgpr1
	s_wait_xcnt 0x0
	s_and_saveexec_b32 s24, vcc_lo
	s_cbranch_execz .LBB2_40
; %bb.42:                               ;   in Loop: Header=BB2_41 Depth=2
	s_add_co_i32 s23, s23, 1
	s_mov_b32 s25, -1
	s_cmp_lg_u32 s23, 0x2710
	s_mov_b32 s26, -1
	s_cselect_b32 s27, -1, 0
	s_cmp_eq_u32 s23, 0x2710
                                        ; implicit-def: $vgpr1
	s_cbranch_scc1 .LBB2_44
; %bb.43:                               ;   in Loop: Header=BB2_41 Depth=2
	v_mov_b32_e32 v61, 1
	s_and_saveexec_b32 s28, s27
	s_cbranch_execz .LBB2_39
	s_branch .LBB2_45
.LBB2_44:                               ;   in Loop: Header=BB2_41 Depth=2
	s_trap 2
	ds_load_b64 v[116:117], v0
	s_and_not1_b32 s23, s27, exec_lo
	s_mov_b32 s26, 0
	s_wait_storecnt 0x0
	s_wait_loadcnt_dscnt 0x0
	flat_load_b32 v1, v[116:117] scope:SCOPE_SYS
	s_wait_loadcnt_dscnt 0x0
	global_inv scope:SCOPE_SYS
	v_cmp_eq_u32_e64 s9, 0, v1
	s_and_b32 s9, s9, exec_lo
	s_delay_alu instid0(SALU_CYCLE_1)
	s_or_b32 s27, s23, s9
	s_mov_b32 s23, 0
	v_mov_b32_e32 v61, 1
	s_and_saveexec_b32 s28, s27
	s_cbranch_execz .LBB2_39
.LBB2_45:                               ;   in Loop: Header=BB2_41 Depth=2
	s_wait_loadcnt_dscnt 0x0
	v_add_nc_u64_e32 v[116:117], 8, v[54:55]
	v_mov_b32_e32 v61, 0
	s_or_b32 s26, s26, exec_lo
	s_delay_alu instid0(VALU_DEP_2)
	v_cmp_ge_u64_e64 s9, v[116:117], v[4:5]
	s_or_not1_b32 s25, s9, exec_lo
	s_branch .LBB2_39
.LBB2_46:                               ;   in Loop: Header=BB2_36 Depth=1
	s_or_b32 exec_lo, exec_lo, s12
	s_xor_b32 s9, s20, -1
	s_delay_alu instid0(SALU_CYCLE_1) | instskip(NEXT) | instid1(SALU_CYCLE_1)
	s_and_saveexec_b32 s12, s9
	s_xor_b32 s9, exec_lo, s12
	s_cbranch_execz .LBB2_48
; %bb.47:                               ;   in Loop: Header=BB2_36 Depth=1
	v_mov_b32_e32 v61, 1
	s_wait_storecnt 0x0
	s_wait_loadcnt_dscnt 0x0
	ds_store_b32 v0, v1
	s_trap 2
.LBB2_48:                               ;   in Loop: Header=BB2_36 Depth=1
	s_or_b32 exec_lo, exec_lo, s9
.LBB2_49:                               ;   in Loop: Header=BB2_36 Depth=1
	s_delay_alu instid0(SALU_CYCLE_1)
	s_or_b32 exec_lo, exec_lo, s11
	s_and_saveexec_b32 s9, s2
	s_cbranch_execz .LBB2_51
; %bb.50:                               ;   in Loop: Header=BB2_36 Depth=1
	v_and_b32_e32 v52, 0x7ffffff8, v14
	s_delay_alu instid0(VALU_DEP_1) | instskip(SKIP_1) | instid1(VALU_DEP_1)
	v_cmp_eq_u64_e32 vcc_lo, 0x7ffffff8, v[52:53]
	v_cndmask_b32_e64 v116, v21, s15, vcc_lo
	v_dual_ashrrev_i32 v117, 31, v116 :: v_dual_bitop2_b32 v1, 7, v14 bitop3:0x40
	s_delay_alu instid0(VALU_DEP_1)
	v_mad_nc_u64_u32 v[14:15], v1, 24, v[12:13]
	flat_store_b64 v[14:15], v[116:117] offset:8 scope:SCOPE_SYS
	s_wait_storecnt 0x0
.LBB2_51:                               ;   in Loop: Header=BB2_36 Depth=1
	s_wait_xcnt 0x0
	s_or_b32 exec_lo, exec_lo, s9
	v_mov_b64_e32 v[14:15], v[4:5]
.LBB2_52:                               ;   in Loop: Header=BB2_36 Depth=1
	s_or_b32 exec_lo, exec_lo, s10
	s_and_saveexec_b32 s9, s3
	s_cbranch_execz .LBB2_71
; %bb.53:                               ;   in Loop: Header=BB2_36 Depth=1
	s_and_saveexec_b32 s10, s4
	s_delay_alu instid0(SALU_CYCLE_1)
	s_xor_b32 s10, exec_lo, s10
	s_cbranch_execz .LBB2_68
; %bb.54:                               ;   in Loop: Header=BB2_36 Depth=1
	s_and_saveexec_b32 s11, s5
	s_cbranch_execz .LBB2_67
; %bb.55:                               ;   in Loop: Header=BB2_36 Depth=1
	s_mov_b32 s20, exec_lo
	s_mov_b32 s12, exec_lo
	v_mbcnt_lo_u32_b32 v1, s20, 0
	global_wb scope:SCOPE_DEV
	s_wait_storecnt 0x0
	s_wait_loadcnt_dscnt 0x0
	global_inv scope:SCOPE_DEV
	v_cmpx_eq_u32_e32 0, v1
	s_cbranch_execz .LBB2_57
; %bb.56:                               ;   in Loop: Header=BB2_36 Depth=1
	s_bcnt1_i32_b32 s20, s20
	s_delay_alu instid0(SALU_CYCLE_1)
	v_mov_b32_e32 v52, s20
	s_wait_loadcnt 0x0
	ds_add_u64 v0, v[52:53]
	s_trap 2
.LBB2_57:                               ;   in Loop: Header=BB2_36 Depth=1
	s_or_b32 exec_lo, exec_lo, s12
	s_trap 2
	ds_load_b64 v[4:5], v0
	s_wait_dscnt 0x0
	v_add_nc_u64_e32 v[64:65], v[64:65], v[82:83]
	s_mov_b32 s12, exec_lo
	s_delay_alu instid0(VALU_DEP_1)
	v_cmpx_lt_u64_e64 v[4:5], v[64:65]
	s_cbranch_execz .LBB2_66
; %bb.58:                               ;   in Loop: Header=BB2_36 Depth=1
	s_mov_b32 s20, 0
	s_mov_b32 s23, 0
                                        ; implicit-def: $sgpr21
                                        ; implicit-def: $sgpr22
	s_branch .LBB2_60
.LBB2_59:                               ;   in Loop: Header=BB2_60 Depth=2
	s_or_b32 exec_lo, exec_lo, s25
	s_delay_alu instid0(SALU_CYCLE_1) | instskip(NEXT) | instid1(SALU_CYCLE_1)
	s_and_b32 s24, exec_lo, s26
	s_or_b32 s20, s24, s20
	s_and_not1_b32 s21, s21, exec_lo
	s_and_b32 s24, s22, exec_lo
	s_delay_alu instid0(SALU_CYCLE_1)
	s_or_b32 s21, s21, s24
	s_and_not1_b32 exec_lo, exec_lo, s20
	s_cbranch_execz .LBB2_64
.LBB2_60:                               ;   Parent Loop BB2_36 Depth=1
                                        ; =>  This Inner Loop Header: Depth=2
	s_add_co_i32 s23, s23, 1
	s_delay_alu instid0(SALU_CYCLE_1) | instskip(SKIP_1) | instid1(SALU_CYCLE_1)
	s_cmp_lg_u32 s23, 0x2710
	s_cselect_b32 s24, -1, 0
	s_and_b32 vcc_lo, exec_lo, s24
	s_cbranch_vccz .LBB2_62
; %bb.61:                               ;   in Loop: Header=BB2_60 Depth=2
	s_mov_b32 s26, -1
	s_or_b32 s22, s22, exec_lo
	s_and_saveexec_b32 s25, s24
	s_cbranch_execz .LBB2_59
	s_branch .LBB2_63
.LBB2_62:                               ;   in Loop: Header=BB2_60 Depth=2
	s_trap 2
	ds_load_b64 v[4:5], v0
	s_and_not1_b32 s24, s24, exec_lo
	s_mov_b32 s23, 0
	s_wait_loadcnt_dscnt 0x0
	flat_load_b32 v1, v[4:5] scope:SCOPE_SYS
	s_wait_loadcnt_dscnt 0x0
	global_inv scope:SCOPE_SYS
	v_cmp_eq_u32_e32 vcc_lo, 0, v1
	s_and_b32 s25, vcc_lo, exec_lo
	s_delay_alu instid0(SALU_CYCLE_1)
	s_or_b32 s24, s24, s25
	s_mov_b32 s26, -1
	s_or_b32 s22, s22, exec_lo
	s_and_saveexec_b32 s25, s24
	s_cbranch_execz .LBB2_59
.LBB2_63:                               ;   in Loop: Header=BB2_60 Depth=2
	s_sleep 1
	s_trap 2
	ds_load_b64 v[4:5], v0
	s_wait_dscnt 0x0
	s_and_not1_b32 s22, s22, exec_lo
	v_cmp_ge_u64_e32 vcc_lo, v[4:5], v[64:65]
	s_or_not1_b32 s26, vcc_lo, exec_lo
	s_branch .LBB2_59
.LBB2_64:                               ;   in Loop: Header=BB2_36 Depth=1
	s_or_b32 exec_lo, exec_lo, s20
	s_and_saveexec_b32 s20, s21
	s_delay_alu instid0(SALU_CYCLE_1)
	s_xor_b32 s20, exec_lo, s20
	s_cbranch_execz .LBB2_66
; %bb.65:                               ;   in Loop: Header=BB2_36 Depth=1
	ds_store_b32 v0, v60
	s_trap 2
.LBB2_66:                               ;   in Loop: Header=BB2_36 Depth=1
	s_or_b32 exec_lo, exec_lo, s12
	;;#ASMSTART
	s_wakeup
	;;#ASMEND
.LBB2_67:                               ;   in Loop: Header=BB2_36 Depth=1
	s_or_b32 exec_lo, exec_lo, s11
.LBB2_68:                               ;   in Loop: Header=BB2_36 Depth=1
	s_and_not1_saveexec_b32 s10, s10
	s_cbranch_execz .LBB2_70
; %bb.69:                               ;   in Loop: Header=BB2_36 Depth=1
	global_wb scope:SCOPE_DEV
	s_wait_storecnt 0x0
	s_wait_loadcnt_dscnt 0x0
	global_inv scope:SCOPE_DEV
	s_barrier_signal -1
	s_barrier_wait -1
.LBB2_70:                               ;   in Loop: Header=BB2_36 Depth=1
	s_or_b32 exec_lo, exec_lo, s10
.LBB2_71:                               ;   in Loop: Header=BB2_36 Depth=1
	s_delay_alu instid0(SALU_CYCLE_1) | instskip(SKIP_2) | instid1(VALU_DEP_2)
	s_or_b32 exec_lo, exec_lo, s9
	v_dual_sub_nc_u32 v1, v2, v30 :: v_dual_bitop2_b32 v40, 7, v16 bitop3:0x40
	v_dual_mov_b32 v18, v0 :: v_dual_add_nc_u32 v3, 1, v16
	v_cmp_lt_i32_e64 s9, 0, v1
	s_and_saveexec_b32 s10, s9
	s_cbranch_execz .LBB2_79
; %bb.72:                               ;   in Loop: Header=BB2_36 Depth=1
	s_wait_loadcnt_dscnt 0x0
	v_mad_nc_u64_u32 v[116:117], v98, v19, v[86:87]
	v_mul_lo_u32 v4, v40, s17
	v_dual_mov_b32 v41, v1 :: v_dual_ashrrev_i32 v18, 31, v19
	s_mov_b32 s11, 0
	s_delay_alu instid0(VALU_DEP_3) | instskip(NEXT) | instid1(VALU_DEP_3)
	v_mad_u32 v2, v99, v19, v117
	v_ashrrev_i32_e32 v5, 31, v4
	v_mad_u32 v19, v58, v19, v56
	s_delay_alu instid0(VALU_DEP_2) | instskip(NEXT) | instid1(VALU_DEP_4)
	v_lshl_add_u64 v[118:119], v[4:5], 4, v[114:115]
	v_mad_u32 v117, v98, v18, v2
	v_mov_b32_e32 v18, v0
	s_branch .LBB2_74
.LBB2_73:                               ;   in Loop: Header=BB2_74 Depth=2
	s_wait_xcnt 0x0
	s_or_b32 exec_lo, exec_lo, s12
	s_wait_loadcnt 0x0
	v_alignbit_b32 v2, v43, v2, v19
	v_alignbit_b32 v4, v42, v43, v19
	v_dual_mov_b32 v5, v3 :: v_dual_sub_nc_u32 v41, v41, v112
	v_add_nc_u64_e32 v[116:117], v[116:117], v[100:101]
	v_dual_add_nc_u32 v18, v18, v20 :: v_dual_add_nc_u32 v19, v19, v59
	global_store_b128 v[118:119], v[2:5], off
	v_cmp_gt_i32_e32 vcc_lo, 1, v41
	s_wait_xcnt 0x0
	v_add_nc_u64_e32 v[118:119], v[118:119], v[102:103]
	s_or_b32 s11, vcc_lo, s11
	s_delay_alu instid0(SALU_CYCLE_1)
	s_and_not1_b32 exec_lo, exec_lo, s11
	s_cbranch_execz .LBB2_78
.LBB2_74:                               ;   Parent Loop BB2_36 Depth=1
                                        ; =>  This Inner Loop Header: Depth=2
	s_delay_alu instid0(VALU_DEP_2)
	v_dual_mov_b32 v5, v117 :: v_dual_bitop2_b32 v4, -4, v116 bitop3:0x40
	v_min_u32_e32 v52, 4, v41
	v_dual_mov_b32 v43, 0 :: v_dual_bitop2_b32 v42, 3, v116 bitop3:0x40
	s_mov_b32 s12, exec_lo
	global_load_b32 v2, v[4:5], off th:TH_LOAD_NT
	v_lshl_add_u32 v52, v52, 1, v42
	v_mov_b32_e32 v42, 0
	s_wait_xcnt 0x0
	s_delay_alu instid0(VALU_DEP_2)
	v_cmpx_lt_u32_e32 4, v52
	s_cbranch_execz .LBB2_76
; %bb.75:                               ;   in Loop: Header=BB2_74 Depth=2
	global_load_b32 v43, v[4:5], off offset:4 th:TH_LOAD_NT
.LBB2_76:                               ;   in Loop: Header=BB2_74 Depth=2
	s_wait_xcnt 0x0
	s_or_b32 exec_lo, exec_lo, s12
	s_delay_alu instid0(SALU_CYCLE_1)
	s_mov_b32 s12, exec_lo
	v_cmpx_lt_u64_e32 8, v[52:53]
	s_cbranch_execz .LBB2_73
; %bb.77:                               ;   in Loop: Header=BB2_74 Depth=2
	global_load_b32 v42, v[4:5], off offset:8 th:TH_LOAD_NT
	s_branch .LBB2_73
.LBB2_78:                               ;   in Loop: Header=BB2_36 Depth=1
	s_or_b32 exec_lo, exec_lo, s11
.LBB2_79:                               ;   in Loop: Header=BB2_36 Depth=1
	s_delay_alu instid0(SALU_CYCLE_1) | instskip(SKIP_2) | instid1(VALU_DEP_2)
	s_or_b32 exec_lo, exec_lo, s10
	v_and_b32_e32 v52, 0x7ffffff8, v16
	v_cmp_gt_i32_e64 s10, s17, v18
	v_cmp_eq_u64_e32 vcc_lo, 0x7ffffff8, v[52:53]
	s_and_b32 s11, vcc_lo, s10
	s_delay_alu instid0(SALU_CYCLE_1)
	s_and_saveexec_b32 s10, s11
	s_cbranch_execz .LBB2_82
; %bb.80:                               ;   in Loop: Header=BB2_36 Depth=1
	v_mul_lo_u32 v4, v40, s17
	v_mov_b32_e32 v2, v53
	s_mov_b32 s11, 0
	s_wait_loadcnt_dscnt 0x0
	s_delay_alu instid0(VALU_DEP_2) | instskip(NEXT) | instid1(VALU_DEP_1)
	v_dual_ashrrev_i32 v19, 31, v18 :: v_dual_ashrrev_i32 v5, 31, v4
	v_lshlrev_b64_e32 v[4:5], 4, v[4:5]
	s_delay_alu instid0(VALU_DEP_1) | instskip(NEXT) | instid1(VALU_DEP_1)
	v_lshl_add_u64 v[4:5], v[18:19], 4, v[4:5]
	v_add_nc_u64_e32 v[116:117], v[36:37], v[4:5]
.LBB2_81:                               ;   Parent Loop BB2_36 Depth=1
                                        ; =>  This Inner Loop Header: Depth=2
	v_dual_mov_b32 v4, v2 :: v_dual_mov_b32 v5, v3
	v_add_nc_u32_e32 v18, v18, v20
	global_store_b128 v[116:117], v[2:5], off
	v_cmp_le_i32_e32 vcc_lo, s17, v18
	s_wait_xcnt 0x0
	v_add_nc_u64_e32 v[116:117], v[116:117], v[102:103]
	s_or_b32 s11, vcc_lo, s11
	s_delay_alu instid0(SALU_CYCLE_1)
	s_and_not1_b32 exec_lo, exec_lo, s11
	s_cbranch_execnz .LBB2_81
.LBB2_82:                               ;   in Loop: Header=BB2_36 Depth=1
	s_or_b32 exec_lo, exec_lo, s10
	v_add_nc_u64_e32 v[116:117], v[80:81], v[24:25]
	v_add_nc_u64_e32 v[118:119], 1, v[16:17]
	s_and_not1_b32 vcc_lo, exec_lo, s19
	s_cbranch_vccnz .LBB2_212
; %bb.83:                               ;   in Loop: Header=BB2_36 Depth=1
	s_delay_alu instid0(VALU_DEP_2)
	v_lshl_add_u64 v[40:41], v[116:117], 1, v[84:85]
	v_add_nc_u16 v62, v16, 1
	s_mov_b32 s20, 2
	s_branch .LBB2_85
.LBB2_84:                               ;   in Loop: Header=BB2_85 Depth=2
	s_or_b32 exec_lo, exec_lo, s10
	v_add_nc_u64_e32 v[34:35], 1, v[34:35]
	v_add_nc_u64_e32 v[118:119], 1, v[118:119]
	v_add_nc_u16 v62, v62, 1
	s_add_co_i32 s20, s20, 1
	s_delay_alu instid0(SALU_CYCLE_1)
	s_cmp_eq_u32 s20, s14
	s_cbranch_scc1 .LBB2_212
.LBB2_85:                               ;   Parent Loop BB2_36 Depth=1
                                        ; =>  This Loop Header: Depth=2
                                        ;       Child Loop BB2_90 Depth 3
                                        ;       Child Loop BB2_109 Depth 3
	;; [unrolled: 1-line block ×3, first 2 shown]
                                        ;         Child Loop BB2_139 Depth 4
                                        ;       Child Loop BB2_201 Depth 3
                                        ;       Child Loop BB2_126 Depth 3
	s_sub_co_i32 s11, s14, s20
	v_readfirstlane_b32 s10, v22
	v_mov_b32_e32 v2, s11
	v_readfirstlane_b32 s11, v23
	flat_load_b32 v4, v2, s[10:11] scale_offset
	s_wait_xcnt 0x0
	s_and_saveexec_b32 s11, s1
	s_cbranch_execz .LBB2_101
; %bb.86:                               ;   in Loop: Header=BB2_85 Depth=2
	v_add_nc_u64_e32 v[2:3], 1, v[14:15]
	s_wait_loadcnt_dscnt 0x101
	v_add_nc_u64_e32 v[16:17], 8, v[54:55]
	s_mov_b32 s12, exec_lo
	s_delay_alu instid0(VALU_DEP_1)
	v_cmpx_lt_u64_e64 v[16:17], v[2:3]
	s_cbranch_execz .LBB2_98
; %bb.87:                               ;   in Loop: Header=BB2_85 Depth=2
	s_mov_b32 s21, 0
	s_mov_b32 s25, 0
	v_cmp_eq_u32_e32 vcc_lo, 0, v61
                                        ; implicit-def: $sgpr22
                                        ; implicit-def: $sgpr23
                                        ; implicit-def: $sgpr24
	s_branch .LBB2_90
.LBB2_88:                               ;   in Loop: Header=BB2_90 Depth=3
	s_or_b32 exec_lo, exec_lo, s40
	s_delay_alu instid0(SALU_CYCLE_1)
	s_and_not1_b32 s10, s24, exec_lo
	s_and_b32 s24, s28, exec_lo
	s_and_not1_b32 s23, s23, exec_lo
	s_and_b32 s27, s27, exec_lo
	s_or_b32 s24, s10, s24
	s_or_b32 s23, s23, s27
.LBB2_89:                               ;   in Loop: Header=BB2_90 Depth=3
	s_or_b32 exec_lo, exec_lo, s26
	s_delay_alu instid0(SALU_CYCLE_1) | instskip(NEXT) | instid1(SALU_CYCLE_1)
	s_and_b32 s10, exec_lo, s23
	s_or_b32 s21, s10, s21
	s_and_not1_b32 s10, s22, exec_lo
	s_and_b32 s22, s24, exec_lo
	s_delay_alu instid0(SALU_CYCLE_1)
	s_or_b32 s22, s10, s22
	s_and_not1_b32 exec_lo, exec_lo, s21
	s_cbranch_execz .LBB2_95
.LBB2_90:                               ;   Parent Loop BB2_36 Depth=1
                                        ;     Parent Loop BB2_85 Depth=2
                                        ; =>    This Inner Loop Header: Depth=3
	s_sleep 1
	s_wait_loadcnt_dscnt 0x0
	flat_load_b64 v[54:55], v[48:49] scope:SCOPE_DEV
	v_mov_b32_e32 v61, 1
	s_or_b32 s24, s24, exec_lo
	s_or_b32 s23, s23, exec_lo
                                        ; implicit-def: $vgpr5
	s_wait_xcnt 0x0
	s_and_saveexec_b32 s26, vcc_lo
	s_cbranch_execz .LBB2_89
; %bb.91:                               ;   in Loop: Header=BB2_90 Depth=3
	s_add_co_i32 s25, s25, 1
	s_mov_b32 s27, -1
	s_cmp_lg_u32 s25, 0x2710
	s_mov_b32 s28, -1
	s_cselect_b32 s29, -1, 0
	s_cmp_eq_u32 s25, 0x2710
                                        ; implicit-def: $vgpr5
	s_cbranch_scc1 .LBB2_93
; %bb.92:                               ;   in Loop: Header=BB2_90 Depth=3
	v_mov_b32_e32 v61, 1
	s_and_saveexec_b32 s40, s29
	s_cbranch_execz .LBB2_88
	s_branch .LBB2_94
.LBB2_93:                               ;   in Loop: Header=BB2_90 Depth=3
	s_trap 2
	ds_load_b64 v[16:17], v0
	s_and_not1_b32 s25, s29, exec_lo
	s_mov_b32 s28, 0
	s_wait_storecnt 0x0
	s_wait_loadcnt_dscnt 0x0
	flat_load_b32 v5, v[16:17] scope:SCOPE_SYS
	s_wait_loadcnt_dscnt 0x0
	global_inv scope:SCOPE_SYS
	v_cmp_eq_u32_e64 s10, 0, v5
	s_and_b32 s10, s10, exec_lo
	s_delay_alu instid0(SALU_CYCLE_1)
	s_or_b32 s29, s25, s10
	s_mov_b32 s25, 0
	v_mov_b32_e32 v61, 1
	s_and_saveexec_b32 s40, s29
	s_cbranch_execz .LBB2_88
.LBB2_94:                               ;   in Loop: Header=BB2_90 Depth=3
	s_wait_loadcnt_dscnt 0x0
	v_add_nc_u64_e32 v[16:17], 8, v[54:55]
	v_mov_b32_e32 v61, 0
	s_or_b32 s28, s28, exec_lo
	s_delay_alu instid0(VALU_DEP_2)
	v_cmp_ge_u64_e64 s10, v[16:17], v[2:3]
	s_or_not1_b32 s27, s10, exec_lo
	s_branch .LBB2_88
.LBB2_95:                               ;   in Loop: Header=BB2_85 Depth=2
	s_or_b32 exec_lo, exec_lo, s21
	s_xor_b32 s10, s22, -1
	s_delay_alu instid0(SALU_CYCLE_1) | instskip(NEXT) | instid1(SALU_CYCLE_1)
	s_and_saveexec_b32 s21, s10
	s_xor_b32 s10, exec_lo, s21
	s_cbranch_execz .LBB2_97
; %bb.96:                               ;   in Loop: Header=BB2_85 Depth=2
	v_mov_b32_e32 v61, 1
	s_wait_storecnt 0x0
	s_wait_loadcnt_dscnt 0x0
	ds_store_b32 v0, v5
	s_trap 2
.LBB2_97:                               ;   in Loop: Header=BB2_85 Depth=2
	s_or_b32 exec_lo, exec_lo, s10
.LBB2_98:                               ;   in Loop: Header=BB2_85 Depth=2
	s_delay_alu instid0(SALU_CYCLE_1)
	s_or_b32 exec_lo, exec_lo, s12
	s_and_saveexec_b32 s10, s2
	s_cbranch_execz .LBB2_100
; %bb.99:                               ;   in Loop: Header=BB2_85 Depth=2
	v_and_b32_e32 v52, 0x7ffffff8, v14
	s_delay_alu instid0(VALU_DEP_1) | instskip(SKIP_1) | instid1(VALU_DEP_1)
	v_cmp_eq_u64_e32 vcc_lo, 0x7ffffff8, v[52:53]
	v_cndmask_b32_e64 v16, v21, s15, vcc_lo
	v_dual_ashrrev_i32 v17, 31, v16 :: v_dual_bitop2_b32 v5, 7, v14 bitop3:0x40
	s_delay_alu instid0(VALU_DEP_1)
	v_mad_nc_u64_u32 v[14:15], v5, 24, v[12:13]
	flat_store_b64 v[14:15], v[16:17] offset:8 scope:SCOPE_SYS
	s_wait_storecnt 0x0
.LBB2_100:                              ;   in Loop: Header=BB2_85 Depth=2
	s_wait_xcnt 0x0
	s_or_b32 exec_lo, exec_lo, s10
	v_mov_b64_e32 v[14:15], v[2:3]
.LBB2_101:                              ;   in Loop: Header=BB2_85 Depth=2
	s_or_b32 exec_lo, exec_lo, s11
	s_and_saveexec_b32 s10, s3
	s_cbranch_execz .LBB2_120
; %bb.102:                              ;   in Loop: Header=BB2_85 Depth=2
	s_and_saveexec_b32 s11, s4
	s_delay_alu instid0(SALU_CYCLE_1)
	s_xor_b32 s11, exec_lo, s11
	s_cbranch_execz .LBB2_117
; %bb.103:                              ;   in Loop: Header=BB2_85 Depth=2
	s_and_saveexec_b32 s12, s5
	s_cbranch_execz .LBB2_116
; %bb.104:                              ;   in Loop: Header=BB2_85 Depth=2
	s_mov_b32 s22, exec_lo
	s_mov_b32 s21, exec_lo
	v_mbcnt_lo_u32_b32 v2, s22, 0
	global_wb scope:SCOPE_DEV
	s_wait_storecnt 0x0
	s_wait_loadcnt_dscnt 0x0
	global_inv scope:SCOPE_DEV
	v_cmpx_eq_u32_e32 0, v2
	s_cbranch_execz .LBB2_106
; %bb.105:                              ;   in Loop: Header=BB2_85 Depth=2
	s_bcnt1_i32_b32 s22, s22
	s_delay_alu instid0(SALU_CYCLE_1)
	v_mov_b32_e32 v52, s22
	s_wait_loadcnt 0x0
	ds_add_u64 v0, v[52:53]
	s_trap 2
.LBB2_106:                              ;   in Loop: Header=BB2_85 Depth=2
	s_or_b32 exec_lo, exec_lo, s21
	s_trap 2
	ds_load_b64 v[2:3], v0
	s_wait_dscnt 0x0
	v_add_nc_u64_e32 v[64:65], v[64:65], v[82:83]
	s_mov_b32 s21, exec_lo
	s_delay_alu instid0(VALU_DEP_1)
	v_cmpx_lt_u64_e64 v[2:3], v[64:65]
	s_cbranch_execz .LBB2_115
; %bb.107:                              ;   in Loop: Header=BB2_85 Depth=2
	s_mov_b32 s22, 0
	s_mov_b32 s25, 0
                                        ; implicit-def: $sgpr23
                                        ; implicit-def: $sgpr24
	s_branch .LBB2_109
.LBB2_108:                              ;   in Loop: Header=BB2_109 Depth=3
	s_or_b32 exec_lo, exec_lo, s27
	s_delay_alu instid0(SALU_CYCLE_1) | instskip(NEXT) | instid1(SALU_CYCLE_1)
	s_and_b32 s26, exec_lo, s28
	s_or_b32 s22, s26, s22
	s_and_not1_b32 s23, s23, exec_lo
	s_and_b32 s26, s24, exec_lo
	s_delay_alu instid0(SALU_CYCLE_1)
	s_or_b32 s23, s23, s26
	s_and_not1_b32 exec_lo, exec_lo, s22
	s_cbranch_execz .LBB2_113
.LBB2_109:                              ;   Parent Loop BB2_36 Depth=1
                                        ;     Parent Loop BB2_85 Depth=2
                                        ; =>    This Inner Loop Header: Depth=3
	s_add_co_i32 s25, s25, 1
	s_delay_alu instid0(SALU_CYCLE_1) | instskip(SKIP_1) | instid1(SALU_CYCLE_1)
	s_cmp_lg_u32 s25, 0x2710
	s_cselect_b32 s26, -1, 0
	s_and_b32 vcc_lo, exec_lo, s26
	s_cbranch_vccz .LBB2_111
; %bb.110:                              ;   in Loop: Header=BB2_109 Depth=3
	s_mov_b32 s28, -1
	s_or_b32 s24, s24, exec_lo
	s_and_saveexec_b32 s27, s26
	s_cbranch_execz .LBB2_108
	s_branch .LBB2_112
.LBB2_111:                              ;   in Loop: Header=BB2_109 Depth=3
	s_trap 2
	ds_load_b64 v[2:3], v0
	s_and_not1_b32 s26, s26, exec_lo
	s_mov_b32 s25, 0
	s_wait_loadcnt_dscnt 0x0
	flat_load_b32 v2, v[2:3] scope:SCOPE_SYS
	s_wait_loadcnt_dscnt 0x0
	global_inv scope:SCOPE_SYS
	v_cmp_eq_u32_e32 vcc_lo, 0, v2
	s_and_b32 s27, vcc_lo, exec_lo
	s_delay_alu instid0(SALU_CYCLE_1)
	s_or_b32 s26, s26, s27
	s_mov_b32 s28, -1
	s_or_b32 s24, s24, exec_lo
	s_and_saveexec_b32 s27, s26
	s_cbranch_execz .LBB2_108
.LBB2_112:                              ;   in Loop: Header=BB2_109 Depth=3
	s_sleep 1
	s_trap 2
	ds_load_b64 v[2:3], v0
	s_wait_dscnt 0x0
	s_and_not1_b32 s24, s24, exec_lo
	v_cmp_ge_u64_e32 vcc_lo, v[2:3], v[64:65]
	s_or_not1_b32 s28, vcc_lo, exec_lo
	s_branch .LBB2_108
.LBB2_113:                              ;   in Loop: Header=BB2_85 Depth=2
	s_or_b32 exec_lo, exec_lo, s22
	s_and_saveexec_b32 s22, s23
	s_delay_alu instid0(SALU_CYCLE_1)
	s_xor_b32 s22, exec_lo, s22
	s_cbranch_execz .LBB2_115
; %bb.114:                              ;   in Loop: Header=BB2_85 Depth=2
	ds_store_b32 v0, v60
	s_trap 2
.LBB2_115:                              ;   in Loop: Header=BB2_85 Depth=2
	s_or_b32 exec_lo, exec_lo, s21
	;;#ASMSTART
	s_wakeup
	;;#ASMEND
.LBB2_116:                              ;   in Loop: Header=BB2_85 Depth=2
	s_or_b32 exec_lo, exec_lo, s12
.LBB2_117:                              ;   in Loop: Header=BB2_85 Depth=2
	s_and_not1_saveexec_b32 s11, s11
	s_cbranch_execz .LBB2_119
; %bb.118:                              ;   in Loop: Header=BB2_85 Depth=2
	global_wb scope:SCOPE_DEV
	s_wait_storecnt 0x0
	s_wait_loadcnt_dscnt 0x0
	global_inv scope:SCOPE_DEV
	s_barrier_signal -1
	s_barrier_wait -1
.LBB2_119:                              ;   in Loop: Header=BB2_85 Depth=2
	s_or_b32 exec_lo, exec_lo, s11
.LBB2_120:                              ;   in Loop: Header=BB2_85 Depth=2
	s_delay_alu instid0(SALU_CYCLE_1)
	s_or_b32 exec_lo, exec_lo, s10
	v_dual_mov_b32 v52, v0 :: v_dual_add_nc_u32 v3, 1, v118
	s_and_saveexec_b32 s21, s9
	s_cbranch_execnz .LBB2_127
; %bb.121:                              ;   in Loop: Header=BB2_85 Depth=2
	s_or_b32 exec_lo, exec_lo, s21
	s_and_saveexec_b32 s10, s3
	s_cbranch_execnz .LBB2_194
.LBB2_122:                              ;   in Loop: Header=BB2_85 Depth=2
	s_or_b32 exec_lo, exec_lo, s10
	s_and_saveexec_b32 s10, s7
	s_cbranch_execz .LBB2_124
.LBB2_123:                              ;   in Loop: Header=BB2_85 Depth=2
	v_add_nc_u64_e32 v[38:39], 1, v[38:39]
	global_wb scope:SCOPE_SYS
	s_wait_storecnt 0x0
	s_wait_loadcnt_dscnt 0x0
	flat_store_b64 v[50:51], v[38:39] scope:SCOPE_SYS
.LBB2_124:                              ;   in Loop: Header=BB2_85 Depth=2
	s_wait_xcnt 0x0
	s_or_b32 exec_lo, exec_lo, s10
	s_wait_loadcnt_dscnt 0x0
	v_and_b32_e32 v4, 0x7ffffff8, v118
	v_mov_b32_e32 v5, v53
	v_cmp_gt_i32_e64 s10, s17, v52
	s_delay_alu instid0(VALU_DEP_2) | instskip(SKIP_1) | instid1(SALU_CYCLE_1)
	v_cmp_eq_u64_e32 vcc_lo, 0x7ffffff8, v[4:5]
	s_and_b32 s11, vcc_lo, s10
	s_and_saveexec_b32 s10, s11
	s_cbranch_execz .LBB2_84
; %bb.125:                              ;   in Loop: Header=BB2_85 Depth=2
	v_dual_ashrrev_i32 v17, 31, v52 :: v_dual_bitop2_b32 v2, 7, v62 bitop3:0x40
	v_mov_b32_e32 v16, v52
	s_mov_b32 s11, 0
	s_delay_alu instid0(VALU_DEP_2) | instskip(NEXT) | instid1(VALU_DEP_1)
	v_mul_lo_u32 v4, s17, v2
	v_dual_mov_b32 v2, v53 :: v_dual_ashrrev_i32 v5, 31, v4
	s_delay_alu instid0(VALU_DEP_1) | instskip(NEXT) | instid1(VALU_DEP_1)
	v_lshlrev_b64_e32 v[4:5], 4, v[4:5]
	v_lshl_add_u64 v[4:5], v[16:17], 4, v[4:5]
	s_delay_alu instid0(VALU_DEP_1)
	v_add_nc_u64_e32 v[16:17], v[36:37], v[4:5]
.LBB2_126:                              ;   Parent Loop BB2_36 Depth=1
                                        ;     Parent Loop BB2_85 Depth=2
                                        ; =>    This Inner Loop Header: Depth=3
	s_delay_alu instid0(VALU_DEP_4) | instskip(SKIP_1) | instid1(VALU_DEP_2)
	v_dual_mov_b32 v4, v2 :: v_dual_add_nc_u32 v52, v52, v20
	v_mov_b32_e32 v5, v3
	v_cmp_le_i32_e32 vcc_lo, s17, v52
	global_store_b128 v[16:17], v[2:5], off
	s_wait_xcnt 0x0
	v_add_nc_u64_e32 v[16:17], v[16:17], v[102:103]
	s_or_b32 s11, vcc_lo, s11
	s_delay_alu instid0(SALU_CYCLE_1)
	s_and_not1_b32 exec_lo, exec_lo, s11
	s_cbranch_execnz .LBB2_126
	s_branch .LBB2_84
.LBB2_127:                              ;   in Loop: Header=BB2_85 Depth=2
	s_wait_loadcnt_dscnt 0x0
	v_dual_ashrrev_i32 v5, 31, v4 :: v_dual_bitop2_b32 v2, 7, v34 bitop3:0x40
	s_mov_b32 s22, 0
	v_dual_mov_b32 v63, v1 :: v_dual_mov_b32 v52, v0
	s_delay_alu instid0(VALU_DEP_2) | instskip(SKIP_3) | instid1(VALU_DEP_3)
	v_mul_u64_e32 v[16:17], v[68:69], v[4:5]
	v_and_b32_e32 v5, 7, v118
	v_mul_lo_u32 v4, v2, s17
	v_add_nc_u32_e32 v2, 1, v34
	v_mul_lo_u32 v18, v5, s17
	s_delay_alu instid0(VALU_DEP_1) | instskip(NEXT) | instid1(VALU_DEP_1)
	v_dual_ashrrev_i32 v5, 31, v4 :: v_dual_ashrrev_i32 v19, 31, v18
	v_lshl_add_u64 v[4:5], v[4:5], 4, v[32:33]
	s_delay_alu instid0(VALU_DEP_2)
	v_lshl_add_u64 v[42:43], v[18:19], 4, v[36:37]
	v_lshl_add_u64 v[44:45], v[16:17], 1, v[40:41]
	s_branch .LBB2_131
.LBB2_128:                              ;   in Loop: Header=BB2_131 Depth=3
	s_or_b32 exec_lo, exec_lo, s23
	s_delay_alu instid0(VALU_DEP_1)
	v_mov_b32_e32 v18, v47
.LBB2_129:                              ;   in Loop: Header=BB2_131 Depth=3
	s_or_b32 exec_lo, exec_lo, s24
.LBB2_130:                              ;   in Loop: Header=BB2_131 Depth=3
	s_delay_alu instid0(SALU_CYCLE_1) | instskip(SKIP_1) | instid1(VALU_DEP_2)
	s_or_b32 exec_lo, exec_lo, s12
	v_dual_mov_b32 v47, v53 :: v_dual_lshlrev_b32 v46, 1, v112
	v_dual_lshlrev_b32 v16, 16, v16 :: v_dual_lshlrev_b32 v18, 16, v18
	v_and_b32_e32 v72, 0xffff, v17
	v_and_b32_e32 v19, 0xffff, v19
	v_or3_b32 v17, 0, 0, v3
	v_sub_nc_u32_e32 v63, v63, v112
	v_add_nc_u64_e32 v[44:45], v[44:45], v[46:47]
	v_lshl_add_u64 v[46:47], v[52:53], 4, v[42:43]
	v_or3_b32 v18, v18, v19, 0
	v_mov_b32_e32 v19, v17
	v_cmp_gt_i32_e32 vcc_lo, 1, v63
	v_or3_b32 v16, v16, v72, 0
	v_add_nc_u32_e32 v52, v52, v20
	s_or_b32 s22, vcc_lo, s22
	global_store_b128 v[46:47], v[16:19], off
	s_wait_xcnt 0x0
	s_and_not1_b32 exec_lo, exec_lo, s22
	s_cbranch_execz .LBB2_193
.LBB2_131:                              ;   Parent Loop BB2_36 Depth=1
                                        ;     Parent Loop BB2_85 Depth=2
                                        ; =>    This Loop Header: Depth=3
                                        ;         Child Loop BB2_139 Depth 4
	s_delay_alu instid0(VALU_DEP_1)
	v_dual_mov_b32 v17, v45 :: v_dual_bitop2_b32 v16, -4, v44 bitop3:0x40
	v_min_u32_e32 v18, 4, v63
	v_dual_mov_b32 v72, 0 :: v_dual_bitop2_b32 v19, 3, v44 bitop3:0x40
	v_mov_b32_e32 v73, 0
	global_load_b32 v74, v[16:17], off th:TH_LOAD_NT
	s_mov_b32 s10, exec_lo
	v_lshl_add_u32 v18, v18, 1, v19
	s_wait_xcnt 0x0
	s_delay_alu instid0(VALU_DEP_1)
	v_cmpx_lt_u32_e32 4, v18
	s_cbranch_execz .LBB2_133
; %bb.132:                              ;   in Loop: Header=BB2_131 Depth=3
	global_load_b32 v73, v[16:17], off offset:4 th:TH_LOAD_NT
.LBB2_133:                              ;   in Loop: Header=BB2_131 Depth=3
	s_wait_xcnt 0x0
	s_or_b32 exec_lo, exec_lo, s10
	v_mov_b32_e32 v19, v53
	s_mov_b32 s10, exec_lo
	s_delay_alu instid0(VALU_DEP_1)
	v_cmpx_lt_u64_e32 8, v[18:19]
	s_cbranch_execz .LBB2_135
; %bb.134:                              ;   in Loop: Header=BB2_131 Depth=3
	global_load_b32 v72, v[16:17], off offset:8 th:TH_LOAD_NT
.LBB2_135:                              ;   in Loop: Header=BB2_131 Depth=3
	s_wait_xcnt 0x0
	s_or_b32 exec_lo, exec_lo, s10
	v_lshl_add_u64 v[46:47], v[52:53], 4, v[4:5]
	v_cmp_eq_u32_e32 vcc_lo, 0, v61
	v_mov_b32_e32 v61, 1
	global_load_b128 v[16:19], v[46:47], off th:TH_LOAD_NT
	s_wait_xcnt 0x0
	s_and_saveexec_b32 s11, vcc_lo
	s_cbranch_execz .LBB2_147
; %bb.136:                              ;   in Loop: Header=BB2_131 Depth=3
	s_wait_loadcnt 0x0
	v_cmp_ne_u32_e32 vcc_lo, v2, v17
	v_cmp_ne_u32_e64 s10, v2, v19
	v_mov_b32_e32 v61, 0
	s_or_b32 s10, vcc_lo, s10
	s_delay_alu instid0(SALU_CYCLE_1)
	s_and_saveexec_b32 s12, s10
	s_cbranch_execz .LBB2_146
; %bb.137:                              ;   in Loop: Header=BB2_131 Depth=3
	s_mov_b32 s26, 1
	s_mov_b32 s24, 0
                                        ; implicit-def: $sgpr23
                                        ; implicit-def: $sgpr25
	s_branch .LBB2_139
.LBB2_138:                              ;   in Loop: Header=BB2_139 Depth=4
	s_or_b32 exec_lo, exec_lo, s28
	s_delay_alu instid0(SALU_CYCLE_1) | instskip(NEXT) | instid1(SALU_CYCLE_1)
	s_and_b32 s10, exec_lo, s10
	s_or_b32 s24, s10, s24
	s_and_not1_b32 s10, s23, exec_lo
	s_and_b32 s23, s25, exec_lo
	s_delay_alu instid0(SALU_CYCLE_1)
	s_or_b32 s23, s10, s23
	s_and_not1_b32 exec_lo, exec_lo, s24
	s_cbranch_execz .LBB2_143
.LBB2_139:                              ;   Parent Loop BB2_36 Depth=1
                                        ;     Parent Loop BB2_85 Depth=2
                                        ;       Parent Loop BB2_131 Depth=3
                                        ; =>      This Inner Loop Header: Depth=4
	s_wait_loadcnt 0x0
	global_load_b128 v[16:19], v[46:47], off th:TH_LOAD_NT
	s_add_co_i32 s26, s26, 1
	s_mov_b32 s10, -1
	s_cmp_lg_u32 s26, 0x2710
	s_mov_b32 s27, -1
                                        ; implicit-def: $vgpr75
	s_cbranch_scc0 .LBB2_141
; %bb.140:                              ;   in Loop: Header=BB2_139 Depth=4
	s_or_b32 s25, s25, exec_lo
	s_wait_xcnt 0x0
	s_and_saveexec_b32 s28, s27
	s_cbranch_execz .LBB2_138
	s_branch .LBB2_142
.LBB2_141:                              ;   in Loop: Header=BB2_139 Depth=4
	s_trap 2
	ds_load_b64 v[76:77], v0
	s_mov_b32 s26, 0
	s_wait_storecnt 0x0
	s_wait_loadcnt_dscnt 0x0
	flat_load_b32 v75, v[76:77] scope:SCOPE_SYS
	s_wait_loadcnt_dscnt 0x0
	global_inv scope:SCOPE_SYS
	v_cmp_eq_u32_e32 vcc_lo, 0, v75
	s_or_not1_b32 s27, vcc_lo, exec_lo
	s_or_b32 s25, s25, exec_lo
	s_wait_xcnt 0x0
	s_and_saveexec_b32 s28, s27
	s_cbranch_execz .LBB2_138
.LBB2_142:                              ;   in Loop: Header=BB2_139 Depth=4
	s_wait_loadcnt 0x0
	v_cmp_eq_u32_e32 vcc_lo, v2, v17
	v_cmp_eq_u32_e64 s10, v2, v19
	s_and_not1_b32 s25, s25, exec_lo
	s_and_b32 s10, vcc_lo, s10
	s_delay_alu instid0(SALU_CYCLE_1)
	s_or_not1_b32 s10, s10, exec_lo
	s_branch .LBB2_138
.LBB2_143:                              ;   in Loop: Header=BB2_131 Depth=3
	s_or_b32 exec_lo, exec_lo, s24
	v_mov_b32_e32 v61, 0
	s_and_saveexec_b32 s10, s23
	s_delay_alu instid0(SALU_CYCLE_1)
	s_xor_b32 s10, exec_lo, s10
	s_cbranch_execz .LBB2_145
; %bb.144:                              ;   in Loop: Header=BB2_131 Depth=3
	v_mov_b32_e32 v61, 1
	s_wait_loadcnt 0x0
	s_wait_storecnt 0x0
	ds_store_b32 v0, v75
	s_trap 2
.LBB2_145:                              ;   in Loop: Header=BB2_131 Depth=3
	s_or_b32 exec_lo, exec_lo, s10
.LBB2_146:                              ;   in Loop: Header=BB2_131 Depth=3
	s_delay_alu instid0(SALU_CYCLE_1)
	s_or_b32 exec_lo, exec_lo, s12
.LBB2_147:                              ;   in Loop: Header=BB2_131 Depth=3
	s_delay_alu instid0(SALU_CYCLE_1) | instskip(SKIP_3) | instid1(VALU_DEP_2)
	s_or_b32 exec_lo, exec_lo, s11
	s_wait_loadcnt 0x0
	v_lshlrev_b32_e32 v19, 3, v44
	v_and_b32_e32 v17, 0x7fff, v16
	v_alignbit_b32 v46, v73, v74, v19
	s_delay_alu instid0(VALU_DEP_2) | instskip(NEXT) | instid1(VALU_DEP_2)
	v_cmp_lt_u16_e32 vcc_lo, 0x7c00, v17
                                        ; implicit-def: $vgpr17
	v_and_b32_e32 v47, 0x7fff, v46
	s_delay_alu instid0(VALU_DEP_1) | instskip(SKIP_1) | instid1(SALU_CYCLE_1)
	v_cmp_gt_u16_e64 s10, 0x7c01, v47
	s_and_b32 s11, vcc_lo, s10
	s_xor_b32 s23, s11, -1
	s_and_saveexec_b32 s11, s6
	s_delay_alu instid0(SALU_CYCLE_1)
	s_xor_b32 s24, exec_lo, s11
	s_cbranch_execz .LBB2_153
; %bb.148:                              ;   in Loop: Header=BB2_131 Depth=3
	v_mov_b32_e32 v17, v46
	s_and_saveexec_b32 s25, s23
	s_cbranch_execz .LBB2_152
; %bb.149:                              ;   in Loop: Header=BB2_131 Depth=3
	v_mov_b32_e32 v17, v16
	s_or_b32 s11, vcc_lo, s10
	s_delay_alu instid0(SALU_CYCLE_1)
	s_and_saveexec_b32 s26, s11
; %bb.150:                              ;   in Loop: Header=BB2_131 Depth=3
	v_cmp_gt_f16_e64 s12, v16, v46
	v_cmp_lt_u16_e64 s11, 0x7c00, v47
	s_delay_alu instid0(VALU_DEP_2)
	v_cndmask_b32_e64 v17, v46, v16, s12
	s_and_b32 s11, vcc_lo, s11
	s_delay_alu instid0(VALU_DEP_1) | instid1(SALU_CYCLE_1)
	v_cndmask_b32_e64 v17, v17, 0x7fff, s11
; %bb.151:                              ;   in Loop: Header=BB2_131 Depth=3
	s_or_b32 exec_lo, exec_lo, s26
.LBB2_152:                              ;   in Loop: Header=BB2_131 Depth=3
	s_delay_alu instid0(SALU_CYCLE_1)
	s_or_b32 exec_lo, exec_lo, s25
                                        ; implicit-def: $vgpr47
.LBB2_153:                              ;   in Loop: Header=BB2_131 Depth=3
	s_and_not1_saveexec_b32 s12, s24
	s_cbranch_execz .LBB2_159
; %bb.154:                              ;   in Loop: Header=BB2_131 Depth=3
	v_mov_b32_e32 v17, v46
	s_and_saveexec_b32 s24, s23
	s_cbranch_execz .LBB2_158
; %bb.155:                              ;   in Loop: Header=BB2_131 Depth=3
	v_mov_b32_e32 v17, v16
	s_or_b32 s10, vcc_lo, s10
	s_delay_alu instid0(SALU_CYCLE_1)
	s_and_saveexec_b32 s23, s10
; %bb.156:                              ;   in Loop: Header=BB2_131 Depth=3
	v_cmp_gt_f16_e64 s11, v16, v46
	v_cmp_lt_u16_e64 s10, 0x7c00, v47
	s_delay_alu instid0(VALU_DEP_2)
	v_cndmask_b32_e64 v17, v16, v46, s11
	s_and_b32 s10, vcc_lo, s10
	s_delay_alu instid0(VALU_DEP_1) | instid1(SALU_CYCLE_1)
	v_cndmask_b32_e64 v17, v17, 0x7fff, s10
; %bb.157:                              ;   in Loop: Header=BB2_131 Depth=3
	s_or_b32 exec_lo, exec_lo, s23
.LBB2_158:                              ;   in Loop: Header=BB2_131 Depth=3
	s_delay_alu instid0(SALU_CYCLE_1)
	s_or_b32 exec_lo, exec_lo, s24
.LBB2_159:                              ;   in Loop: Header=BB2_131 Depth=3
	s_delay_alu instid0(SALU_CYCLE_1) | instskip(SKIP_1) | instid1(VALU_DEP_1)
	s_or_b32 exec_lo, exec_lo, s12
	v_dual_lshrrev_b32 v47, 16, v16 :: v_dual_lshrrev_b32 v16, 16, v46
	v_and_b32_e32 v74, 0x7fff, v47
	s_delay_alu instid0(VALU_DEP_2) | instskip(NEXT) | instid1(VALU_DEP_2)
	v_and_b32_e32 v46, 0x7fff, v16
	v_cmp_lt_u16_e32 vcc_lo, 0x7c00, v74
	s_delay_alu instid0(VALU_DEP_2) | instskip(SKIP_1) | instid1(SALU_CYCLE_1)
	v_cmp_gt_u16_e64 s10, 0x7c01, v46
	s_and_b32 s11, vcc_lo, s10
	s_xor_b32 s23, s11, -1
	s_and_saveexec_b32 s11, s6
	s_delay_alu instid0(SALU_CYCLE_1)
	s_xor_b32 s24, exec_lo, s11
	s_cbranch_execz .LBB2_165
; %bb.160:                              ;   in Loop: Header=BB2_131 Depth=3
	s_and_saveexec_b32 s25, s23
	s_cbranch_execz .LBB2_164
; %bb.161:                              ;   in Loop: Header=BB2_131 Depth=3
	s_or_b32 s11, vcc_lo, s10
	s_delay_alu instid0(SALU_CYCLE_1)
	s_and_saveexec_b32 s26, s11
; %bb.162:                              ;   in Loop: Header=BB2_131 Depth=3
	v_cmp_gt_f16_e64 s12, v47, v16
	v_cmp_lt_u16_e64 s11, 0x7c00, v46
	s_delay_alu instid0(VALU_DEP_2)
	v_cndmask_b32_e64 v16, v16, v47, s12
	s_and_b32 s11, vcc_lo, s11
	s_delay_alu instid0(VALU_DEP_1) | instid1(SALU_CYCLE_1)
	v_cndmask_b32_e64 v47, v16, 0x7fff, s11
; %bb.163:                              ;   in Loop: Header=BB2_131 Depth=3
	s_or_b32 exec_lo, exec_lo, s26
	s_delay_alu instid0(VALU_DEP_1)
	v_mov_b32_e32 v16, v47
.LBB2_164:                              ;   in Loop: Header=BB2_131 Depth=3
	s_or_b32 exec_lo, exec_lo, s25
                                        ; implicit-def: $vgpr47
                                        ; implicit-def: $vgpr46
.LBB2_165:                              ;   in Loop: Header=BB2_131 Depth=3
	s_and_not1_saveexec_b32 s12, s24
	s_cbranch_execz .LBB2_171
; %bb.166:                              ;   in Loop: Header=BB2_131 Depth=3
	s_and_saveexec_b32 s24, s23
	s_cbranch_execz .LBB2_170
; %bb.167:                              ;   in Loop: Header=BB2_131 Depth=3
	s_or_b32 s10, vcc_lo, s10
	s_delay_alu instid0(SALU_CYCLE_1)
	s_and_saveexec_b32 s23, s10
; %bb.168:                              ;   in Loop: Header=BB2_131 Depth=3
	v_cmp_gt_f16_e64 s11, v47, v16
	v_cmp_lt_u16_e64 s10, 0x7c00, v46
	s_delay_alu instid0(VALU_DEP_2)
	v_cndmask_b32_e64 v16, v47, v16, s11
	s_and_b32 s10, vcc_lo, s10
	s_delay_alu instid0(VALU_DEP_1) | instid1(SALU_CYCLE_1)
	v_cndmask_b32_e64 v47, v16, 0x7fff, s10
; %bb.169:                              ;   in Loop: Header=BB2_131 Depth=3
	s_or_b32 exec_lo, exec_lo, s23
	s_delay_alu instid0(VALU_DEP_1)
	v_mov_b32_e32 v16, v47
.LBB2_170:                              ;   in Loop: Header=BB2_131 Depth=3
	s_or_b32 exec_lo, exec_lo, s24
.LBB2_171:                              ;   in Loop: Header=BB2_131 Depth=3
	s_delay_alu instid0(SALU_CYCLE_1) | instskip(SKIP_2) | instid1(VALU_DEP_2)
	s_or_b32 exec_lo, exec_lo, s12
	v_alignbit_b32 v46, v72, v73, v19
	v_and_b32_e32 v19, 0x7fff, v18
	v_and_b32_e32 v47, 0x7fff, v46
	s_delay_alu instid0(VALU_DEP_2) | instskip(NEXT) | instid1(VALU_DEP_2)
	v_cmp_lt_u16_e32 vcc_lo, 0x7c00, v19
                                        ; implicit-def: $vgpr19
	v_cmp_gt_u16_e64 s10, 0x7c01, v47
	s_and_b32 s11, vcc_lo, s10
	s_delay_alu instid0(SALU_CYCLE_1) | instskip(SKIP_1) | instid1(SALU_CYCLE_1)
	s_xor_b32 s23, s11, -1
	s_and_saveexec_b32 s11, s6
	s_xor_b32 s24, exec_lo, s11
	s_cbranch_execz .LBB2_177
; %bb.172:                              ;   in Loop: Header=BB2_131 Depth=3
	v_mov_b32_e32 v19, v46
	s_and_saveexec_b32 s25, s23
	s_cbranch_execz .LBB2_176
; %bb.173:                              ;   in Loop: Header=BB2_131 Depth=3
	v_mov_b32_e32 v19, v18
	s_or_b32 s11, vcc_lo, s10
	s_delay_alu instid0(SALU_CYCLE_1)
	s_and_saveexec_b32 s26, s11
; %bb.174:                              ;   in Loop: Header=BB2_131 Depth=3
	v_cmp_gt_f16_e64 s12, v18, v46
	v_cmp_lt_u16_e64 s11, 0x7c00, v47
	s_delay_alu instid0(VALU_DEP_2)
	v_cndmask_b32_e64 v19, v46, v18, s12
	s_and_b32 s11, vcc_lo, s11
	s_delay_alu instid0(VALU_DEP_1) | instid1(SALU_CYCLE_1)
	v_cndmask_b32_e64 v19, v19, 0x7fff, s11
; %bb.175:                              ;   in Loop: Header=BB2_131 Depth=3
	s_or_b32 exec_lo, exec_lo, s26
.LBB2_176:                              ;   in Loop: Header=BB2_131 Depth=3
	s_delay_alu instid0(SALU_CYCLE_1)
	s_or_b32 exec_lo, exec_lo, s25
                                        ; implicit-def: $vgpr47
.LBB2_177:                              ;   in Loop: Header=BB2_131 Depth=3
	s_and_not1_saveexec_b32 s12, s24
	s_cbranch_execz .LBB2_183
; %bb.178:                              ;   in Loop: Header=BB2_131 Depth=3
	v_mov_b32_e32 v19, v46
	s_and_saveexec_b32 s24, s23
	s_cbranch_execz .LBB2_182
; %bb.179:                              ;   in Loop: Header=BB2_131 Depth=3
	v_mov_b32_e32 v19, v18
	s_or_b32 s10, vcc_lo, s10
	s_delay_alu instid0(SALU_CYCLE_1)
	s_and_saveexec_b32 s23, s10
; %bb.180:                              ;   in Loop: Header=BB2_131 Depth=3
	v_cmp_gt_f16_e64 s11, v18, v46
	v_cmp_lt_u16_e64 s10, 0x7c00, v47
	s_delay_alu instid0(VALU_DEP_2)
	v_cndmask_b32_e64 v19, v18, v46, s11
	s_and_b32 s10, vcc_lo, s10
	s_delay_alu instid0(VALU_DEP_1) | instid1(SALU_CYCLE_1)
	v_cndmask_b32_e64 v19, v19, 0x7fff, s10
; %bb.181:                              ;   in Loop: Header=BB2_131 Depth=3
	s_or_b32 exec_lo, exec_lo, s23
.LBB2_182:                              ;   in Loop: Header=BB2_131 Depth=3
	s_delay_alu instid0(SALU_CYCLE_1)
	s_or_b32 exec_lo, exec_lo, s24
.LBB2_183:                              ;   in Loop: Header=BB2_131 Depth=3
	s_delay_alu instid0(SALU_CYCLE_1) | instskip(SKIP_2) | instid1(VALU_DEP_2)
	s_or_b32 exec_lo, exec_lo, s12
	v_lshrrev_b32_e32 v47, 16, v18
	v_lshrrev_b32_e32 v18, 16, v46
	v_and_b32_e32 v72, 0x7fff, v47
	s_delay_alu instid0(VALU_DEP_2) | instskip(NEXT) | instid1(VALU_DEP_2)
	v_and_b32_e32 v46, 0x7fff, v18
	v_cmp_lt_u16_e32 vcc_lo, 0x7c00, v72
	s_delay_alu instid0(VALU_DEP_2) | instskip(SKIP_1) | instid1(SALU_CYCLE_1)
	v_cmp_gt_u16_e64 s10, 0x7c01, v46
	s_and_b32 s11, vcc_lo, s10
	s_xor_b32 s23, s11, -1
	s_and_saveexec_b32 s11, s6
	s_delay_alu instid0(SALU_CYCLE_1)
	s_xor_b32 s24, exec_lo, s11
	s_cbranch_execz .LBB2_189
; %bb.184:                              ;   in Loop: Header=BB2_131 Depth=3
	s_and_saveexec_b32 s25, s23
	s_cbranch_execz .LBB2_188
; %bb.185:                              ;   in Loop: Header=BB2_131 Depth=3
	s_or_b32 s11, vcc_lo, s10
	s_delay_alu instid0(SALU_CYCLE_1)
	s_and_saveexec_b32 s26, s11
; %bb.186:                              ;   in Loop: Header=BB2_131 Depth=3
	v_cmp_gt_f16_e64 s12, v47, v18
	v_cmp_lt_u16_e64 s11, 0x7c00, v46
	s_delay_alu instid0(VALU_DEP_2)
	v_cndmask_b32_e64 v18, v18, v47, s12
	s_and_b32 s11, vcc_lo, s11
	s_delay_alu instid0(VALU_DEP_1) | instid1(SALU_CYCLE_1)
	v_cndmask_b32_e64 v47, v18, 0x7fff, s11
; %bb.187:                              ;   in Loop: Header=BB2_131 Depth=3
	s_or_b32 exec_lo, exec_lo, s26
	s_delay_alu instid0(VALU_DEP_1)
	v_mov_b32_e32 v18, v47
.LBB2_188:                              ;   in Loop: Header=BB2_131 Depth=3
	s_or_b32 exec_lo, exec_lo, s25
                                        ; implicit-def: $vgpr47
                                        ; implicit-def: $vgpr46
.LBB2_189:                              ;   in Loop: Header=BB2_131 Depth=3
	s_and_not1_saveexec_b32 s12, s24
	s_cbranch_execz .LBB2_130
; %bb.190:                              ;   in Loop: Header=BB2_131 Depth=3
	s_and_saveexec_b32 s24, s23
	s_cbranch_execz .LBB2_129
; %bb.191:                              ;   in Loop: Header=BB2_131 Depth=3
	s_or_b32 s10, vcc_lo, s10
	s_delay_alu instid0(SALU_CYCLE_1)
	s_and_saveexec_b32 s23, s10
	s_cbranch_execz .LBB2_128
; %bb.192:                              ;   in Loop: Header=BB2_131 Depth=3
	v_cmp_gt_f16_e64 s11, v47, v18
	v_cmp_lt_u16_e64 s10, 0x7c00, v46
	s_delay_alu instid0(VALU_DEP_2)
	v_cndmask_b32_e64 v18, v47, v18, s11
	s_and_b32 s10, vcc_lo, s10
	s_delay_alu instid0(VALU_DEP_1) | instid1(SALU_CYCLE_1)
	v_cndmask_b32_e64 v47, v18, 0x7fff, s10
	s_branch .LBB2_128
.LBB2_193:                              ;   in Loop: Header=BB2_85 Depth=2
	s_or_b32 exec_lo, exec_lo, s22
	s_delay_alu instid0(SALU_CYCLE_1)
	s_or_b32 exec_lo, exec_lo, s21
	s_and_saveexec_b32 s10, s3
	s_cbranch_execz .LBB2_122
.LBB2_194:                              ;   in Loop: Header=BB2_85 Depth=2
	s_and_saveexec_b32 s11, s4
	s_delay_alu instid0(SALU_CYCLE_1)
	s_xor_b32 s11, exec_lo, s11
	s_cbranch_execz .LBB2_209
; %bb.195:                              ;   in Loop: Header=BB2_85 Depth=2
	s_and_saveexec_b32 s12, s5
	s_cbranch_execz .LBB2_208
; %bb.196:                              ;   in Loop: Header=BB2_85 Depth=2
	s_mov_b32 s22, exec_lo
	s_mov_b32 s21, exec_lo
	v_mbcnt_lo_u32_b32 v2, s22, 0
	global_wb scope:SCOPE_DEV
	s_wait_storecnt 0x0
	s_wait_loadcnt_dscnt 0x0
	global_inv scope:SCOPE_DEV
	v_cmpx_eq_u32_e32 0, v2
	s_cbranch_execz .LBB2_198
; %bb.197:                              ;   in Loop: Header=BB2_85 Depth=2
	s_bcnt1_i32_b32 s22, s22
	s_delay_alu instid0(SALU_CYCLE_1)
	v_dual_mov_b32 v5, v53 :: v_dual_mov_b32 v4, s22
	s_wait_loadcnt 0x0
	ds_add_u64 v0, v[4:5]
	s_trap 2
.LBB2_198:                              ;   in Loop: Header=BB2_85 Depth=2
	s_or_b32 exec_lo, exec_lo, s21
	s_trap 2
	ds_load_b64 v[4:5], v0
	s_wait_dscnt 0x0
	v_add_nc_u64_e32 v[64:65], v[64:65], v[82:83]
	s_mov_b32 s21, exec_lo
	s_delay_alu instid0(VALU_DEP_1)
	v_cmpx_lt_u64_e64 v[4:5], v[64:65]
	s_cbranch_execz .LBB2_207
; %bb.199:                              ;   in Loop: Header=BB2_85 Depth=2
	s_mov_b32 s22, 0
	s_mov_b32 s25, 0
                                        ; implicit-def: $sgpr23
                                        ; implicit-def: $sgpr24
	s_branch .LBB2_201
.LBB2_200:                              ;   in Loop: Header=BB2_201 Depth=3
	s_or_b32 exec_lo, exec_lo, s27
	s_delay_alu instid0(SALU_CYCLE_1) | instskip(NEXT) | instid1(SALU_CYCLE_1)
	s_and_b32 s26, exec_lo, s28
	s_or_b32 s22, s26, s22
	s_and_not1_b32 s23, s23, exec_lo
	s_and_b32 s26, s24, exec_lo
	s_delay_alu instid0(SALU_CYCLE_1)
	s_or_b32 s23, s23, s26
	s_and_not1_b32 exec_lo, exec_lo, s22
	s_cbranch_execz .LBB2_205
.LBB2_201:                              ;   Parent Loop BB2_36 Depth=1
                                        ;     Parent Loop BB2_85 Depth=2
                                        ; =>    This Inner Loop Header: Depth=3
	s_add_co_i32 s25, s25, 1
	s_delay_alu instid0(SALU_CYCLE_1) | instskip(SKIP_1) | instid1(SALU_CYCLE_1)
	s_cmp_lg_u32 s25, 0x2710
	s_cselect_b32 s26, -1, 0
	s_and_b32 vcc_lo, exec_lo, s26
	s_cbranch_vccz .LBB2_203
; %bb.202:                              ;   in Loop: Header=BB2_201 Depth=3
	s_mov_b32 s28, -1
	s_or_b32 s24, s24, exec_lo
	s_and_saveexec_b32 s27, s26
	s_cbranch_execz .LBB2_200
	s_branch .LBB2_204
.LBB2_203:                              ;   in Loop: Header=BB2_201 Depth=3
	s_trap 2
	ds_load_b64 v[4:5], v0
	s_and_not1_b32 s26, s26, exec_lo
	s_mov_b32 s25, 0
	s_wait_loadcnt_dscnt 0x0
	flat_load_b32 v2, v[4:5] scope:SCOPE_SYS
	s_wait_loadcnt_dscnt 0x0
	global_inv scope:SCOPE_SYS
	v_cmp_eq_u32_e32 vcc_lo, 0, v2
	s_and_b32 s27, vcc_lo, exec_lo
	s_delay_alu instid0(SALU_CYCLE_1)
	s_or_b32 s26, s26, s27
	s_mov_b32 s28, -1
	s_or_b32 s24, s24, exec_lo
	s_and_saveexec_b32 s27, s26
	s_cbranch_execz .LBB2_200
.LBB2_204:                              ;   in Loop: Header=BB2_201 Depth=3
	s_sleep 1
	s_trap 2
	ds_load_b64 v[4:5], v0
	s_wait_dscnt 0x0
	s_and_not1_b32 s24, s24, exec_lo
	v_cmp_ge_u64_e32 vcc_lo, v[4:5], v[64:65]
	s_or_not1_b32 s28, vcc_lo, exec_lo
	s_branch .LBB2_200
.LBB2_205:                              ;   in Loop: Header=BB2_85 Depth=2
	s_or_b32 exec_lo, exec_lo, s22
	s_and_saveexec_b32 s22, s23
	s_delay_alu instid0(SALU_CYCLE_1)
	s_xor_b32 s22, exec_lo, s22
	s_cbranch_execz .LBB2_207
; %bb.206:                              ;   in Loop: Header=BB2_85 Depth=2
	ds_store_b32 v0, v60
	s_trap 2
.LBB2_207:                              ;   in Loop: Header=BB2_85 Depth=2
	s_or_b32 exec_lo, exec_lo, s21
	;;#ASMSTART
	s_wakeup
	;;#ASMEND
.LBB2_208:                              ;   in Loop: Header=BB2_85 Depth=2
	s_or_b32 exec_lo, exec_lo, s12
.LBB2_209:                              ;   in Loop: Header=BB2_85 Depth=2
	s_and_not1_saveexec_b32 s11, s11
	s_cbranch_execz .LBB2_211
; %bb.210:                              ;   in Loop: Header=BB2_85 Depth=2
	global_wb scope:SCOPE_DEV
	s_wait_storecnt 0x0
	s_wait_loadcnt_dscnt 0x0
	global_inv scope:SCOPE_DEV
	s_barrier_signal -1
	s_barrier_wait -1
.LBB2_211:                              ;   in Loop: Header=BB2_85 Depth=2
	s_or_b32 exec_lo, exec_lo, s11
	s_delay_alu instid0(SALU_CYCLE_1)
	s_or_b32 exec_lo, exec_lo, s10
	s_and_saveexec_b32 s10, s7
	s_cbranch_execnz .LBB2_123
	s_branch .LBB2_124
.LBB2_212:                              ;   in Loop: Header=BB2_36 Depth=1
	s_delay_alu instid0(VALU_DEP_1)
	v_mov_b64_e32 v[16:17], v[118:119]
	s_and_saveexec_b32 s12, s9
	s_cbranch_execnz .LBB2_215
; %bb.213:                              ;   in Loop: Header=BB2_36 Depth=1
	s_or_b32 exec_lo, exec_lo, s12
	s_and_saveexec_b32 s9, s3
	s_cbranch_execnz .LBB2_292
.LBB2_214:                              ;   in Loop: Header=BB2_36 Depth=1
	s_or_b32 exec_lo, exec_lo, s9
	s_and_saveexec_b32 s9, s7
	s_cbranch_execz .LBB2_35
	s_branch .LBB2_310
.LBB2_215:                              ;   in Loop: Header=BB2_36 Depth=1
	flat_load_b32 v2, v[22:23]
	v_dual_add_nc_u32 v21, 1, v34 :: v_dual_bitop2_b32 v18, 7, v34 bitop3:0x40
	v_lshlrev_b64_e32 v[4:5], 1, v[116:117]
	v_lshlrev_b32_e32 v52, 1, v30
	s_mov_b32 s20, 0
	s_delay_alu instid0(VALU_DEP_3) | instskip(SKIP_2) | instid1(VALU_DEP_4)
	v_mul_lo_u32 v118, v18, s17
	v_mov_b32_e32 v40, v0
	s_wait_loadcnt_dscnt 0x101
	v_add_nc_u64_e32 v[18:19], v[10:11], v[4:5]
	s_delay_alu instid0(VALU_DEP_3) | instskip(NEXT) | instid1(VALU_DEP_1)
	v_ashrrev_i32_e32 v119, 31, v118
	v_lshl_add_u64 v[118:119], v[118:119], 4, v[32:33]
	s_wait_loadcnt_dscnt 0x0
	v_ashrrev_i32_e32 v3, 31, v2
	s_delay_alu instid0(VALU_DEP_1) | instskip(NEXT) | instid1(VALU_DEP_1)
	v_mul_u64_e32 v[2:3], v[68:69], v[2:3]
	v_lshl_add_u64 v[2:3], v[2:3], 1, v[18:19]
	v_add_nc_u64_e32 v[18:19], v[8:9], v[4:5]
	s_delay_alu instid0(VALU_DEP_2)
	v_add_nc_u64_e32 v[116:117], v[2:3], v[52:53]
	s_branch .LBB2_217
.LBB2_216:                              ;   in Loop: Header=BB2_217 Depth=2
	v_dual_lshlrev_b32 v52, 1, v112 :: v_dual_sub_nc_u32 v1, v1, v112
	v_add_nc_u32_e32 v40, v40, v20
	s_delay_alu instid0(VALU_DEP_2) | instskip(NEXT) | instid1(VALU_DEP_3)
	v_add_nc_u64_e32 v[116:117], v[116:117], v[52:53]
	v_cmp_gt_i32_e32 vcc_lo, 1, v1
	s_wait_xcnt 0x0
	v_add_nc_u64_e32 v[18:19], v[18:19], v[52:53]
	s_or_b32 s20, vcc_lo, s20
	s_delay_alu instid0(SALU_CYCLE_1)
	s_and_not1_b32 exec_lo, exec_lo, s20
	s_cbranch_execz .LBB2_291
.LBB2_217:                              ;   Parent Loop BB2_36 Depth=1
                                        ; =>  This Loop Header: Depth=2
                                        ;       Child Loop BB2_225 Depth 3
	s_delay_alu instid0(VALU_DEP_1)
	v_dual_mov_b32 v3, v117 :: v_dual_bitop2_b32 v2, -4, v116 bitop3:0x40
	v_min_u32_e32 v4, 4, v1
	v_dual_mov_b32 v44, 0 :: v_dual_bitop2_b32 v5, 3, v116 bitop3:0x40
	v_mov_b32_e32 v45, 0
	global_load_b32 v46, v[2:3], off th:TH_LOAD_NT
	s_mov_b32 s9, exec_lo
	v_lshl_add_u32 v52, v4, 1, v5
	s_wait_xcnt 0x0
	s_delay_alu instid0(VALU_DEP_1)
	v_cmpx_lt_u32_e32 4, v52
	s_cbranch_execz .LBB2_219
; %bb.218:                              ;   in Loop: Header=BB2_217 Depth=2
	global_load_b32 v45, v[2:3], off offset:4 th:TH_LOAD_NT
.LBB2_219:                              ;   in Loop: Header=BB2_217 Depth=2
	s_wait_xcnt 0x0
	s_or_b32 exec_lo, exec_lo, s9
	s_delay_alu instid0(SALU_CYCLE_1)
	s_mov_b32 s9, exec_lo
	v_cmpx_lt_u64_e32 8, v[52:53]
	s_cbranch_execz .LBB2_221
; %bb.220:                              ;   in Loop: Header=BB2_217 Depth=2
	global_load_b32 v44, v[2:3], off offset:8 th:TH_LOAD_NT
.LBB2_221:                              ;   in Loop: Header=BB2_217 Depth=2
	s_wait_xcnt 0x0
	s_or_b32 exec_lo, exec_lo, s9
	v_mov_b32_e32 v41, v53
	v_cmp_eq_u32_e32 vcc_lo, 0, v61
	v_mov_b32_e32 v61, 1
	s_delay_alu instid0(VALU_DEP_3)
	v_lshl_add_u64 v[42:43], v[40:41], 4, v[118:119]
	global_load_b128 v[2:5], v[42:43], off th:TH_LOAD_NT
	s_wait_xcnt 0x0
	s_and_saveexec_b32 s10, vcc_lo
	s_cbranch_execz .LBB2_233
; %bb.222:                              ;   in Loop: Header=BB2_217 Depth=2
	s_wait_loadcnt 0x0
	v_cmp_ne_u32_e32 vcc_lo, v21, v3
	v_cmp_ne_u32_e64 s9, v21, v5
	v_mov_b32_e32 v61, 0
	s_or_b32 s9, vcc_lo, s9
	s_delay_alu instid0(SALU_CYCLE_1)
	s_and_saveexec_b32 s11, s9
	s_cbranch_execz .LBB2_232
; %bb.223:                              ;   in Loop: Header=BB2_217 Depth=2
	s_mov_b32 s24, 1
	s_mov_b32 s22, 0
                                        ; implicit-def: $sgpr21
                                        ; implicit-def: $sgpr23
	s_branch .LBB2_225
.LBB2_224:                              ;   in Loop: Header=BB2_225 Depth=3
	s_or_b32 exec_lo, exec_lo, s26
	s_delay_alu instid0(SALU_CYCLE_1) | instskip(NEXT) | instid1(SALU_CYCLE_1)
	s_and_b32 s9, exec_lo, s9
	s_or_b32 s22, s9, s22
	s_and_not1_b32 s9, s21, exec_lo
	s_and_b32 s21, s23, exec_lo
	s_delay_alu instid0(SALU_CYCLE_1)
	s_or_b32 s21, s9, s21
	s_and_not1_b32 exec_lo, exec_lo, s22
	s_cbranch_execz .LBB2_229
.LBB2_225:                              ;   Parent Loop BB2_36 Depth=1
                                        ;     Parent Loop BB2_217 Depth=2
                                        ; =>    This Inner Loop Header: Depth=3
	s_wait_loadcnt 0x0
	global_load_b128 v[2:5], v[42:43], off th:TH_LOAD_NT
	s_add_co_i32 s24, s24, 1
	s_mov_b32 s9, -1
	s_cmp_lg_u32 s24, 0x2710
	s_mov_b32 s25, -1
                                        ; implicit-def: $vgpr52
	s_cbranch_scc0 .LBB2_227
; %bb.226:                              ;   in Loop: Header=BB2_225 Depth=3
	s_or_b32 s23, s23, exec_lo
	s_wait_xcnt 0x0
	s_and_saveexec_b32 s26, s25
	s_cbranch_execz .LBB2_224
	s_branch .LBB2_228
.LBB2_227:                              ;   in Loop: Header=BB2_225 Depth=3
	s_trap 2
	ds_load_b64 v[62:63], v0
	s_mov_b32 s24, 0
	s_wait_storecnt 0x0
	s_wait_loadcnt_dscnt 0x0
	flat_load_b32 v52, v[62:63] scope:SCOPE_SYS
	s_wait_loadcnt_dscnt 0x0
	global_inv scope:SCOPE_SYS
	v_cmp_eq_u32_e32 vcc_lo, 0, v52
	s_or_not1_b32 s25, vcc_lo, exec_lo
	s_or_b32 s23, s23, exec_lo
	s_wait_xcnt 0x0
	s_and_saveexec_b32 s26, s25
	s_cbranch_execz .LBB2_224
.LBB2_228:                              ;   in Loop: Header=BB2_225 Depth=3
	s_wait_loadcnt 0x0
	v_cmp_eq_u32_e32 vcc_lo, v21, v3
	v_cmp_eq_u32_e64 s9, v21, v5
	s_and_not1_b32 s23, s23, exec_lo
	s_and_b32 s9, vcc_lo, s9
	s_delay_alu instid0(SALU_CYCLE_1)
	s_or_not1_b32 s9, s9, exec_lo
	s_branch .LBB2_224
.LBB2_229:                              ;   in Loop: Header=BB2_217 Depth=2
	s_or_b32 exec_lo, exec_lo, s22
	v_mov_b32_e32 v61, 0
	s_and_saveexec_b32 s9, s21
	s_delay_alu instid0(SALU_CYCLE_1)
	s_xor_b32 s9, exec_lo, s9
	s_cbranch_execz .LBB2_231
; %bb.230:                              ;   in Loop: Header=BB2_217 Depth=2
	v_mov_b32_e32 v61, 1
	s_wait_loadcnt 0x0
	s_wait_storecnt 0x0
	ds_store_b32 v0, v52
	s_trap 2
.LBB2_231:                              ;   in Loop: Header=BB2_217 Depth=2
	s_or_b32 exec_lo, exec_lo, s9
.LBB2_232:                              ;   in Loop: Header=BB2_217 Depth=2
	s_delay_alu instid0(SALU_CYCLE_1)
	s_or_b32 exec_lo, exec_lo, s11
.LBB2_233:                              ;   in Loop: Header=BB2_217 Depth=2
	s_delay_alu instid0(SALU_CYCLE_1) | instskip(SKIP_3) | instid1(VALU_DEP_2)
	s_or_b32 exec_lo, exec_lo, s10
	s_wait_loadcnt 0x0
	v_lshlrev_b32_e32 v5, 3, v116
	v_and_b32_e32 v3, 0x7fff, v2
	v_alignbit_b32 v52, v45, v46, v5
	s_delay_alu instid0(VALU_DEP_2) | instskip(NEXT) | instid1(VALU_DEP_2)
	v_cmp_lt_u16_e32 vcc_lo, 0x7c00, v3
                                        ; implicit-def: $vgpr3
	v_and_b32_e32 v41, 0x7fff, v52
	s_delay_alu instid0(VALU_DEP_1) | instskip(SKIP_1) | instid1(SALU_CYCLE_1)
	v_cmp_gt_u16_e64 s9, 0x7c01, v41
	s_and_b32 s10, vcc_lo, s9
	s_xor_b32 s21, s10, -1
	s_and_saveexec_b32 s10, s6
	s_delay_alu instid0(SALU_CYCLE_1)
	s_xor_b32 s22, exec_lo, s10
	s_cbranch_execz .LBB2_239
; %bb.234:                              ;   in Loop: Header=BB2_217 Depth=2
	v_mov_b32_e32 v3, v52
	s_and_saveexec_b32 s23, s21
	s_cbranch_execz .LBB2_238
; %bb.235:                              ;   in Loop: Header=BB2_217 Depth=2
	v_mov_b32_e32 v3, v2
	s_or_b32 s10, vcc_lo, s9
	s_delay_alu instid0(SALU_CYCLE_1)
	s_and_saveexec_b32 s24, s10
; %bb.236:                              ;   in Loop: Header=BB2_217 Depth=2
	v_cmp_gt_f16_e64 s11, v2, v52
	v_cmp_lt_u16_e64 s10, 0x7c00, v41
	s_delay_alu instid0(VALU_DEP_2)
	v_cndmask_b32_e64 v3, v52, v2, s11
	s_and_b32 s10, vcc_lo, s10
	s_delay_alu instid0(VALU_DEP_1) | instid1(SALU_CYCLE_1)
	v_cndmask_b32_e64 v3, v3, 0x7fff, s10
; %bb.237:                              ;   in Loop: Header=BB2_217 Depth=2
	s_or_b32 exec_lo, exec_lo, s24
.LBB2_238:                              ;   in Loop: Header=BB2_217 Depth=2
	s_delay_alu instid0(SALU_CYCLE_1)
	s_or_b32 exec_lo, exec_lo, s23
                                        ; implicit-def: $vgpr41
.LBB2_239:                              ;   in Loop: Header=BB2_217 Depth=2
	s_and_not1_saveexec_b32 s11, s22
	s_cbranch_execz .LBB2_245
; %bb.240:                              ;   in Loop: Header=BB2_217 Depth=2
	v_mov_b32_e32 v3, v52
	s_and_saveexec_b32 s22, s21
	s_cbranch_execz .LBB2_244
; %bb.241:                              ;   in Loop: Header=BB2_217 Depth=2
	v_mov_b32_e32 v3, v2
	s_or_b32 s9, vcc_lo, s9
	s_delay_alu instid0(SALU_CYCLE_1)
	s_and_saveexec_b32 s21, s9
; %bb.242:                              ;   in Loop: Header=BB2_217 Depth=2
	v_cmp_gt_f16_e64 s10, v2, v52
	v_cmp_lt_u16_e64 s9, 0x7c00, v41
	s_delay_alu instid0(VALU_DEP_2)
	v_cndmask_b32_e64 v3, v2, v52, s10
	s_and_b32 s9, vcc_lo, s9
	s_delay_alu instid0(VALU_DEP_1) | instid1(SALU_CYCLE_1)
	v_cndmask_b32_e64 v3, v3, 0x7fff, s9
; %bb.243:                              ;   in Loop: Header=BB2_217 Depth=2
	s_or_b32 exec_lo, exec_lo, s21
.LBB2_244:                              ;   in Loop: Header=BB2_217 Depth=2
	s_delay_alu instid0(SALU_CYCLE_1)
	s_or_b32 exec_lo, exec_lo, s22
.LBB2_245:                              ;   in Loop: Header=BB2_217 Depth=2
	s_delay_alu instid0(SALU_CYCLE_1) | instskip(SKIP_1) | instid1(VALU_DEP_1)
	s_or_b32 exec_lo, exec_lo, s11
	v_dual_lshrrev_b32 v41, 16, v2 :: v_dual_lshrrev_b32 v2, 16, v52
	v_and_b32_e32 v42, 0x7fff, v41
	s_delay_alu instid0(VALU_DEP_2) | instskip(NEXT) | instid1(VALU_DEP_2)
	v_and_b32_e32 v52, 0x7fff, v2
	v_cmp_lt_u16_e32 vcc_lo, 0x7c00, v42
	s_delay_alu instid0(VALU_DEP_2) | instskip(SKIP_1) | instid1(SALU_CYCLE_1)
	v_cmp_gt_u16_e64 s9, 0x7c01, v52
	s_and_b32 s10, vcc_lo, s9
	s_xor_b32 s21, s10, -1
	s_and_saveexec_b32 s10, s6
	s_delay_alu instid0(SALU_CYCLE_1)
	s_xor_b32 s22, exec_lo, s10
	s_cbranch_execz .LBB2_251
; %bb.246:                              ;   in Loop: Header=BB2_217 Depth=2
	s_and_saveexec_b32 s23, s21
	s_cbranch_execz .LBB2_250
; %bb.247:                              ;   in Loop: Header=BB2_217 Depth=2
	s_or_b32 s10, vcc_lo, s9
	s_delay_alu instid0(SALU_CYCLE_1)
	s_and_saveexec_b32 s24, s10
; %bb.248:                              ;   in Loop: Header=BB2_217 Depth=2
	v_cmp_gt_f16_e64 s11, v41, v2
	v_cmp_lt_u16_e64 s10, 0x7c00, v52
	s_delay_alu instid0(VALU_DEP_2)
	v_cndmask_b32_e64 v2, v2, v41, s11
	s_and_b32 s10, vcc_lo, s10
	s_delay_alu instid0(VALU_DEP_1) | instid1(SALU_CYCLE_1)
	v_cndmask_b32_e64 v41, v2, 0x7fff, s10
; %bb.249:                              ;   in Loop: Header=BB2_217 Depth=2
	s_or_b32 exec_lo, exec_lo, s24
	s_delay_alu instid0(VALU_DEP_1)
	v_mov_b32_e32 v2, v41
.LBB2_250:                              ;   in Loop: Header=BB2_217 Depth=2
	s_or_b32 exec_lo, exec_lo, s23
                                        ; implicit-def: $vgpr41
                                        ; implicit-def: $vgpr52
.LBB2_251:                              ;   in Loop: Header=BB2_217 Depth=2
	s_and_not1_saveexec_b32 s11, s22
	s_cbranch_execz .LBB2_257
; %bb.252:                              ;   in Loop: Header=BB2_217 Depth=2
	s_and_saveexec_b32 s22, s21
	s_cbranch_execz .LBB2_256
; %bb.253:                              ;   in Loop: Header=BB2_217 Depth=2
	s_or_b32 s9, vcc_lo, s9
	s_delay_alu instid0(SALU_CYCLE_1)
	s_and_saveexec_b32 s21, s9
; %bb.254:                              ;   in Loop: Header=BB2_217 Depth=2
	v_cmp_gt_f16_e64 s10, v41, v2
	v_cmp_lt_u16_e64 s9, 0x7c00, v52
	s_delay_alu instid0(VALU_DEP_2)
	v_cndmask_b32_e64 v2, v41, v2, s10
	s_and_b32 s9, vcc_lo, s9
	s_delay_alu instid0(VALU_DEP_1) | instid1(SALU_CYCLE_1)
	v_cndmask_b32_e64 v41, v2, 0x7fff, s9
; %bb.255:                              ;   in Loop: Header=BB2_217 Depth=2
	s_or_b32 exec_lo, exec_lo, s21
	s_delay_alu instid0(VALU_DEP_1)
	v_mov_b32_e32 v2, v41
.LBB2_256:                              ;   in Loop: Header=BB2_217 Depth=2
	s_or_b32 exec_lo, exec_lo, s22
.LBB2_257:                              ;   in Loop: Header=BB2_217 Depth=2
	s_delay_alu instid0(SALU_CYCLE_1) | instskip(SKIP_2) | instid1(VALU_DEP_2)
	s_or_b32 exec_lo, exec_lo, s11
	v_alignbit_b32 v52, v44, v45, v5
	v_and_b32_e32 v5, 0x7fff, v4
	v_and_b32_e32 v41, 0x7fff, v52
	s_delay_alu instid0(VALU_DEP_2) | instskip(NEXT) | instid1(VALU_DEP_2)
	v_cmp_lt_u16_e32 vcc_lo, 0x7c00, v5
                                        ; implicit-def: $vgpr5
	v_cmp_gt_u16_e64 s9, 0x7c01, v41
	s_and_b32 s10, vcc_lo, s9
	s_delay_alu instid0(SALU_CYCLE_1) | instskip(SKIP_1) | instid1(SALU_CYCLE_1)
	s_xor_b32 s21, s10, -1
	s_and_saveexec_b32 s10, s6
	s_xor_b32 s22, exec_lo, s10
	s_cbranch_execz .LBB2_263
; %bb.258:                              ;   in Loop: Header=BB2_217 Depth=2
	v_mov_b32_e32 v5, v52
	s_and_saveexec_b32 s23, s21
	s_cbranch_execz .LBB2_262
; %bb.259:                              ;   in Loop: Header=BB2_217 Depth=2
	v_mov_b32_e32 v5, v4
	s_or_b32 s10, vcc_lo, s9
	s_delay_alu instid0(SALU_CYCLE_1)
	s_and_saveexec_b32 s24, s10
; %bb.260:                              ;   in Loop: Header=BB2_217 Depth=2
	v_cmp_gt_f16_e64 s11, v4, v52
	v_cmp_lt_u16_e64 s10, 0x7c00, v41
	s_delay_alu instid0(VALU_DEP_2)
	v_cndmask_b32_e64 v5, v52, v4, s11
	s_and_b32 s10, vcc_lo, s10
	s_delay_alu instid0(VALU_DEP_1) | instid1(SALU_CYCLE_1)
	v_cndmask_b32_e64 v5, v5, 0x7fff, s10
; %bb.261:                              ;   in Loop: Header=BB2_217 Depth=2
	s_or_b32 exec_lo, exec_lo, s24
.LBB2_262:                              ;   in Loop: Header=BB2_217 Depth=2
	s_delay_alu instid0(SALU_CYCLE_1)
	s_or_b32 exec_lo, exec_lo, s23
                                        ; implicit-def: $vgpr41
.LBB2_263:                              ;   in Loop: Header=BB2_217 Depth=2
	s_and_not1_saveexec_b32 s11, s22
	s_cbranch_execz .LBB2_269
; %bb.264:                              ;   in Loop: Header=BB2_217 Depth=2
	v_mov_b32_e32 v5, v52
	s_and_saveexec_b32 s22, s21
	s_cbranch_execz .LBB2_268
; %bb.265:                              ;   in Loop: Header=BB2_217 Depth=2
	v_mov_b32_e32 v5, v4
	s_or_b32 s9, vcc_lo, s9
	s_delay_alu instid0(SALU_CYCLE_1)
	s_and_saveexec_b32 s21, s9
; %bb.266:                              ;   in Loop: Header=BB2_217 Depth=2
	v_cmp_gt_f16_e64 s10, v4, v52
	v_cmp_lt_u16_e64 s9, 0x7c00, v41
	s_delay_alu instid0(VALU_DEP_2)
	v_cndmask_b32_e64 v5, v4, v52, s10
	s_and_b32 s9, vcc_lo, s9
	s_delay_alu instid0(VALU_DEP_1) | instid1(SALU_CYCLE_1)
	v_cndmask_b32_e64 v5, v5, 0x7fff, s9
; %bb.267:                              ;   in Loop: Header=BB2_217 Depth=2
	s_or_b32 exec_lo, exec_lo, s21
.LBB2_268:                              ;   in Loop: Header=BB2_217 Depth=2
	s_delay_alu instid0(SALU_CYCLE_1)
	s_or_b32 exec_lo, exec_lo, s22
.LBB2_269:                              ;   in Loop: Header=BB2_217 Depth=2
	s_delay_alu instid0(SALU_CYCLE_1) | instskip(SKIP_2) | instid1(VALU_DEP_2)
	s_or_b32 exec_lo, exec_lo, s11
	v_lshrrev_b32_e32 v41, 16, v4
	v_lshrrev_b32_e32 v4, 16, v52
	v_and_b32_e32 v42, 0x7fff, v41
	s_delay_alu instid0(VALU_DEP_2) | instskip(NEXT) | instid1(VALU_DEP_2)
	v_and_b32_e32 v52, 0x7fff, v4
	v_cmp_lt_u16_e32 vcc_lo, 0x7c00, v42
	s_delay_alu instid0(VALU_DEP_2) | instskip(SKIP_1) | instid1(SALU_CYCLE_1)
	v_cmp_gt_u16_e64 s9, 0x7c01, v52
	s_and_b32 s10, vcc_lo, s9
	s_xor_b32 s21, s10, -1
	s_and_saveexec_b32 s10, s6
	s_delay_alu instid0(SALU_CYCLE_1)
	s_xor_b32 s22, exec_lo, s10
	s_cbranch_execz .LBB2_275
; %bb.270:                              ;   in Loop: Header=BB2_217 Depth=2
	s_and_saveexec_b32 s23, s21
	s_cbranch_execz .LBB2_274
; %bb.271:                              ;   in Loop: Header=BB2_217 Depth=2
	s_or_b32 s10, vcc_lo, s9
	s_delay_alu instid0(SALU_CYCLE_1)
	s_and_saveexec_b32 s24, s10
; %bb.272:                              ;   in Loop: Header=BB2_217 Depth=2
	v_cmp_gt_f16_e64 s11, v41, v4
	v_cmp_lt_u16_e64 s10, 0x7c00, v52
	s_delay_alu instid0(VALU_DEP_2)
	v_cndmask_b32_e64 v4, v4, v41, s11
	s_and_b32 s10, vcc_lo, s10
	s_delay_alu instid0(VALU_DEP_1) | instid1(SALU_CYCLE_1)
	v_cndmask_b32_e64 v41, v4, 0x7fff, s10
; %bb.273:                              ;   in Loop: Header=BB2_217 Depth=2
	s_or_b32 exec_lo, exec_lo, s24
	s_delay_alu instid0(VALU_DEP_1)
	v_mov_b32_e32 v4, v41
.LBB2_274:                              ;   in Loop: Header=BB2_217 Depth=2
	s_or_b32 exec_lo, exec_lo, s23
                                        ; implicit-def: $vgpr41
                                        ; implicit-def: $vgpr52
.LBB2_275:                              ;   in Loop: Header=BB2_217 Depth=2
	s_and_not1_saveexec_b32 s11, s22
	s_cbranch_execz .LBB2_281
; %bb.276:                              ;   in Loop: Header=BB2_217 Depth=2
	s_and_saveexec_b32 s22, s21
	s_cbranch_execz .LBB2_280
; %bb.277:                              ;   in Loop: Header=BB2_217 Depth=2
	s_or_b32 s9, vcc_lo, s9
	s_delay_alu instid0(SALU_CYCLE_1)
	s_and_saveexec_b32 s21, s9
; %bb.278:                              ;   in Loop: Header=BB2_217 Depth=2
	v_cmp_gt_f16_e64 s10, v41, v4
	v_cmp_lt_u16_e64 s9, 0x7c00, v52
	s_delay_alu instid0(VALU_DEP_2)
	v_cndmask_b32_e64 v4, v41, v4, s10
	s_and_b32 s9, vcc_lo, s9
	s_delay_alu instid0(VALU_DEP_1) | instid1(SALU_CYCLE_1)
	v_cndmask_b32_e64 v41, v4, 0x7fff, s9
; %bb.279:                              ;   in Loop: Header=BB2_217 Depth=2
	s_or_b32 exec_lo, exec_lo, s21
	s_delay_alu instid0(VALU_DEP_1)
	v_mov_b32_e32 v4, v41
.LBB2_280:                              ;   in Loop: Header=BB2_217 Depth=2
	s_or_b32 exec_lo, exec_lo, s22
.LBB2_281:                              ;   in Loop: Header=BB2_217 Depth=2
	s_delay_alu instid0(SALU_CYCLE_1) | instskip(SKIP_2) | instid1(SALU_CYCLE_1)
	s_or_b32 exec_lo, exec_lo, s11
	v_cmp_lt_u32_e32 vcc_lo, 3, v1
	s_and_b32 s9, s8, vcc_lo
	v_cndmask_b32_e64 v52, 0, 1, s9
	s_delay_alu instid0(VALU_DEP_1)
	v_cmp_ne_u32_e64 s9, 0, v52
	s_cmp_lg_u32 s9, exec_lo
	s_mov_b32 s9, -1
	s_cbranch_scc0 .LBB2_289
; %bb.282:                              ;   in Loop: Header=BB2_217 Depth=2
	s_mov_b32 s10, exec_lo
	flat_store_b16 v[18:19], v3
	s_wait_xcnt 0x0
	v_cmpx_ne_u32_e32 1, v1
	s_cbranch_execz .LBB2_284
; %bb.283:                              ;   in Loop: Header=BB2_217 Depth=2
	flat_store_b16 v[18:19], v2 offset:2
.LBB2_284:                              ;   in Loop: Header=BB2_217 Depth=2
	s_wait_xcnt 0x0
	s_or_b32 exec_lo, exec_lo, s10
	s_delay_alu instid0(SALU_CYCLE_1)
	s_mov_b32 s10, exec_lo
	v_cmpx_lt_u32_e32 2, v1
	s_cbranch_execz .LBB2_286
; %bb.285:                              ;   in Loop: Header=BB2_217 Depth=2
	flat_store_b16 v[18:19], v5 offset:4
.LBB2_286:                              ;   in Loop: Header=BB2_217 Depth=2
	s_wait_xcnt 0x0
	s_or_b32 exec_lo, exec_lo, s10
	s_and_saveexec_b32 s9, vcc_lo
	s_cbranch_execz .LBB2_288
; %bb.287:                              ;   in Loop: Header=BB2_217 Depth=2
	flat_store_b16 v[18:19], v4 offset:6
.LBB2_288:                              ;   in Loop: Header=BB2_217 Depth=2
	s_wait_xcnt 0x0
	s_or_b32 exec_lo, exec_lo, s9
	s_mov_b32 s9, 0
.LBB2_289:                              ;   in Loop: Header=BB2_217 Depth=2
	s_delay_alu instid0(SALU_CYCLE_1)
	s_and_b32 vcc_lo, exec_lo, s9
	s_cbranch_vccz .LBB2_216
; %bb.290:                              ;   in Loop: Header=BB2_217 Depth=2
	v_dual_lshlrev_b32 v2, 16, v2 :: v_dual_lshlrev_b32 v4, 16, v4
	v_and_b32_e32 v3, 0xffff, v3
	v_and_b32_e32 v5, 0xffff, v5
	s_delay_alu instid0(VALU_DEP_2) | instskip(NEXT) | instid1(VALU_DEP_2)
	v_or_b32_e32 v2, v2, v3
	v_or3_b32 v3, v4, v5, 0
	s_delay_alu instid0(VALU_DEP_2)
	v_or3_b32 v2, 0, 0, v2
	global_store_b64 v[18:19], v[2:3], off
	s_branch .LBB2_216
.LBB2_291:                              ;   in Loop: Header=BB2_36 Depth=1
	s_or_b32 exec_lo, exec_lo, s20
	s_delay_alu instid0(SALU_CYCLE_1)
	s_or_b32 exec_lo, exec_lo, s12
	s_and_saveexec_b32 s9, s3
	s_cbranch_execz .LBB2_214
.LBB2_292:                              ;   in Loop: Header=BB2_36 Depth=1
	s_and_saveexec_b32 s10, s4
	s_delay_alu instid0(SALU_CYCLE_1)
	s_xor_b32 s10, exec_lo, s10
	s_cbranch_execz .LBB2_307
; %bb.293:                              ;   in Loop: Header=BB2_36 Depth=1
	s_and_saveexec_b32 s11, s5
	s_cbranch_execz .LBB2_306
; %bb.294:                              ;   in Loop: Header=BB2_36 Depth=1
	s_mov_b32 s20, exec_lo
	s_mov_b32 s12, exec_lo
	v_mbcnt_lo_u32_b32 v1, s20, 0
	global_wb scope:SCOPE_DEV
	s_wait_storecnt 0x0
	s_wait_loadcnt_dscnt 0x0
	global_inv scope:SCOPE_DEV
	v_cmpx_eq_u32_e32 0, v1
	s_cbranch_execz .LBB2_296
; %bb.295:                              ;   in Loop: Header=BB2_36 Depth=1
	s_bcnt1_i32_b32 s20, s20
	s_delay_alu instid0(SALU_CYCLE_1)
	v_mov_b32_e32 v52, s20
	s_wait_loadcnt 0x0
	ds_add_u64 v0, v[52:53]
	s_trap 2
.LBB2_296:                              ;   in Loop: Header=BB2_36 Depth=1
	s_or_b32 exec_lo, exec_lo, s12
	s_trap 2
	ds_load_b64 v[2:3], v0
	s_wait_dscnt 0x0
	v_add_nc_u64_e32 v[64:65], v[64:65], v[82:83]
	s_mov_b32 s12, exec_lo
	s_delay_alu instid0(VALU_DEP_1)
	v_cmpx_lt_u64_e64 v[2:3], v[64:65]
	s_cbranch_execz .LBB2_305
; %bb.297:                              ;   in Loop: Header=BB2_36 Depth=1
	s_mov_b32 s20, 0
	s_mov_b32 s23, 0
                                        ; implicit-def: $sgpr21
                                        ; implicit-def: $sgpr22
	s_branch .LBB2_299
.LBB2_298:                              ;   in Loop: Header=BB2_299 Depth=2
	s_or_b32 exec_lo, exec_lo, s25
	s_delay_alu instid0(SALU_CYCLE_1) | instskip(NEXT) | instid1(SALU_CYCLE_1)
	s_and_b32 s24, exec_lo, s26
	s_or_b32 s20, s24, s20
	s_and_not1_b32 s21, s21, exec_lo
	s_and_b32 s24, s22, exec_lo
	s_delay_alu instid0(SALU_CYCLE_1)
	s_or_b32 s21, s21, s24
	s_and_not1_b32 exec_lo, exec_lo, s20
	s_cbranch_execz .LBB2_303
.LBB2_299:                              ;   Parent Loop BB2_36 Depth=1
                                        ; =>  This Inner Loop Header: Depth=2
	s_add_co_i32 s23, s23, 1
	s_delay_alu instid0(SALU_CYCLE_1) | instskip(SKIP_1) | instid1(SALU_CYCLE_1)
	s_cmp_lg_u32 s23, 0x2710
	s_cselect_b32 s24, -1, 0
	s_and_b32 vcc_lo, exec_lo, s24
	s_cbranch_vccz .LBB2_301
; %bb.300:                              ;   in Loop: Header=BB2_299 Depth=2
	s_mov_b32 s26, -1
	s_or_b32 s22, s22, exec_lo
	s_and_saveexec_b32 s25, s24
	s_cbranch_execz .LBB2_298
	s_branch .LBB2_302
.LBB2_301:                              ;   in Loop: Header=BB2_299 Depth=2
	s_trap 2
	ds_load_b64 v[2:3], v0
	s_and_not1_b32 s24, s24, exec_lo
	s_mov_b32 s23, 0
	s_wait_loadcnt_dscnt 0x0
	flat_load_b32 v1, v[2:3] scope:SCOPE_SYS
	s_wait_loadcnt_dscnt 0x0
	global_inv scope:SCOPE_SYS
	v_cmp_eq_u32_e32 vcc_lo, 0, v1
	s_and_b32 s25, vcc_lo, exec_lo
	s_delay_alu instid0(SALU_CYCLE_1)
	s_or_b32 s24, s24, s25
	s_mov_b32 s26, -1
	s_or_b32 s22, s22, exec_lo
	s_and_saveexec_b32 s25, s24
	s_cbranch_execz .LBB2_298
.LBB2_302:                              ;   in Loop: Header=BB2_299 Depth=2
	s_sleep 1
	s_trap 2
	ds_load_b64 v[2:3], v0
	s_wait_dscnt 0x0
	s_and_not1_b32 s22, s22, exec_lo
	v_cmp_ge_u64_e32 vcc_lo, v[2:3], v[64:65]
	s_or_not1_b32 s26, vcc_lo, exec_lo
	s_branch .LBB2_298
.LBB2_303:                              ;   in Loop: Header=BB2_36 Depth=1
	s_or_b32 exec_lo, exec_lo, s20
	s_and_saveexec_b32 s20, s21
	s_delay_alu instid0(SALU_CYCLE_1)
	s_xor_b32 s20, exec_lo, s20
	s_cbranch_execz .LBB2_305
; %bb.304:                              ;   in Loop: Header=BB2_36 Depth=1
	ds_store_b32 v0, v60
	s_trap 2
.LBB2_305:                              ;   in Loop: Header=BB2_36 Depth=1
	s_or_b32 exec_lo, exec_lo, s12
	;;#ASMSTART
	s_wakeup
	;;#ASMEND
.LBB2_306:                              ;   in Loop: Header=BB2_36 Depth=1
	s_or_b32 exec_lo, exec_lo, s11
.LBB2_307:                              ;   in Loop: Header=BB2_36 Depth=1
	s_and_not1_saveexec_b32 s10, s10
	s_cbranch_execz .LBB2_309
; %bb.308:                              ;   in Loop: Header=BB2_36 Depth=1
	global_wb scope:SCOPE_DEV
	s_wait_storecnt 0x0
	s_wait_loadcnt_dscnt 0x0
	global_inv scope:SCOPE_DEV
	s_barrier_signal -1
	s_barrier_wait -1
.LBB2_309:                              ;   in Loop: Header=BB2_36 Depth=1
	s_or_b32 exec_lo, exec_lo, s10
	s_delay_alu instid0(SALU_CYCLE_1)
	s_or_b32 exec_lo, exec_lo, s9
	s_and_saveexec_b32 s9, s7
	s_cbranch_execz .LBB2_35
.LBB2_310:                              ;   in Loop: Header=BB2_36 Depth=1
	v_add_nc_u64_e32 v[38:39], 1, v[38:39]
	global_wb scope:SCOPE_SYS
	s_wait_storecnt 0x0
	s_wait_loadcnt_dscnt 0x0
	flat_store_b64 v[50:51], v[38:39] scope:SCOPE_SYS
	s_branch .LBB2_35
.LBB2_311:
	s_or_b32 exec_lo, exec_lo, s18
	s_delay_alu instid0(SALU_CYCLE_1)
	s_or_b32 exec_lo, exec_lo, s16
	s_and_saveexec_b32 s1, s13
	s_cbranch_execz .LBB2_20
.LBB2_312:
	s_wait_dscnt 0x0
	flat_store_b64 v[28:29], v[38:39] offset:104
	s_wait_xcnt 0x0
	s_or_b32 exec_lo, exec_lo, s1
	s_and_saveexec_b32 s1, s0
	s_cbranch_execnz .LBB2_21
	s_branch .LBB2_22
.LBB2_313:
	s_or_b32 exec_lo, exec_lo, s4
	s_and_saveexec_b32 s4, s5
	s_delay_alu instid0(SALU_CYCLE_1)
	s_xor_b32 s4, exec_lo, s4
	s_cbranch_execz .LBB2_315
; %bb.314:
	v_mov_b32_e32 v0, 1
	ds_store_b32 v0, v0
	s_trap 2
.LBB2_315:
	s_or_b32 exec_lo, exec_lo, s3
	;;#ASMSTART
	s_wakeup
	;;#ASMEND
.LBB2_316:
	s_or_b32 exec_lo, exec_lo, s2
.LBB2_317:
	s_and_not1_saveexec_b32 s1, s1
	s_cbranch_execz .LBB2_319
; %bb.318:
	global_wb scope:SCOPE_DEV
	s_wait_storecnt 0x0
	s_wait_loadcnt_dscnt 0x0
	global_inv scope:SCOPE_DEV
	s_barrier_signal -1
	s_barrier_wait -1
.LBB2_319:
	s_or_b32 exec_lo, exec_lo, s0
	s_clause 0x15
	scratch_load_b32 v77, off, s32
	scratch_load_b32 v76, off, s32 offset:4
	scratch_load_b32 v75, off, s32 offset:8
	;; [unrolled: 1-line block ×21, first 2 shown]
	s_wait_loadcnt_dscnt 0x0
	s_set_pc_i64 s[30:31]
.Lfunc_end2:
	.size	_ZN12_GLOBAL__N_17runRingI6__half10FuncMinMaxIS1_E7ProtoLLLi0ELi2ELi0EEEviiP15ncclDevWorkColl, .Lfunc_end2-_ZN12_GLOBAL__N_17runRingI6__half10FuncMinMaxIS1_E7ProtoLLLi0ELi2ELi0EEEviiP15ncclDevWorkColl
                                        ; -- End function
	.set .L_ZN12_GLOBAL__N_17runRingI6__half10FuncMinMaxIS1_E7ProtoLLLi0ELi2ELi0EEEviiP15ncclDevWorkColl.num_vgpr, 120
	.set .L_ZN12_GLOBAL__N_17runRingI6__half10FuncMinMaxIS1_E7ProtoLLLi0ELi2ELi0EEEviiP15ncclDevWorkColl.num_agpr, 0
	.set .L_ZN12_GLOBAL__N_17runRingI6__half10FuncMinMaxIS1_E7ProtoLLLi0ELi2ELi0EEEviiP15ncclDevWorkColl.numbered_sgpr, 41
	.set .L_ZN12_GLOBAL__N_17runRingI6__half10FuncMinMaxIS1_E7ProtoLLLi0ELi2ELi0EEEviiP15ncclDevWorkColl.num_named_barrier, 0
	.set .L_ZN12_GLOBAL__N_17runRingI6__half10FuncMinMaxIS1_E7ProtoLLLi0ELi2ELi0EEEviiP15ncclDevWorkColl.private_seg_size, 92
	.set .L_ZN12_GLOBAL__N_17runRingI6__half10FuncMinMaxIS1_E7ProtoLLLi0ELi2ELi0EEEviiP15ncclDevWorkColl.uses_vcc, 1
	.set .L_ZN12_GLOBAL__N_17runRingI6__half10FuncMinMaxIS1_E7ProtoLLLi0ELi2ELi0EEEviiP15ncclDevWorkColl.uses_flat_scratch, 1
	.set .L_ZN12_GLOBAL__N_17runRingI6__half10FuncMinMaxIS1_E7ProtoLLLi0ELi2ELi0EEEviiP15ncclDevWorkColl.has_dyn_sized_stack, 0
	.set .L_ZN12_GLOBAL__N_17runRingI6__half10FuncMinMaxIS1_E7ProtoLLLi0ELi2ELi0EEEviiP15ncclDevWorkColl.has_recursion, 0
	.set .L_ZN12_GLOBAL__N_17runRingI6__half10FuncMinMaxIS1_E7ProtoLLLi0ELi2ELi0EEEviiP15ncclDevWorkColl.has_indirect_call, 0
	.section	.AMDGPU.csdata,"",@progbits
; Function info:
; codeLenInByte = 10432
; TotalNumSgprs: 43
; NumVgprs: 120
; ScratchSize: 92
; MemoryBound: 0
	.text
	.p2align	2                               ; -- Begin function _Z50ncclDevFunc_ReduceScatter_RING_LL_MinMax_f16_0_0_2v
	.type	_Z50ncclDevFunc_ReduceScatter_RING_LL_MinMax_f16_0_0_2v,@function
_Z50ncclDevFunc_ReduceScatter_RING_LL_MinMax_f16_0_0_2v: ; @_Z50ncclDevFunc_ReduceScatter_RING_LL_MinMax_f16_0_0_2v
; %bb.0:
	s_wait_loadcnt_dscnt 0x0
	s_wait_kmcnt 0x0
	s_mov_b32 s56, s33
	s_mov_b32 s33, s32
	s_or_saveexec_b32 s0, -1
	scratch_store_b32 off, v41, s33 offset:4 ; 4-byte Folded Spill
	s_wait_xcnt 0x0
	s_mov_b32 exec_lo, s0
	s_add_co_i32 s32, s32, 16
	scratch_store_b32 off, v40, s33         ; 4-byte Folded Spill
	v_writelane_b32 v41, s30, 0
	v_writelane_b32 v41, s31, 1
	s_trap 2
	ds_load_b32 v0, v0
	s_wait_xcnt 0x0
	v_and_b32_e32 v40, 0x3ff, v31
	s_mov_b32 s41, s12
	s_mov_b64 s[42:43], s[8:9]
	s_mov_b32 s2, exec_lo
	s_wait_dscnt 0x0
	v_cmpx_lt_i32_e64 v40, v0
	s_cbranch_execz .LBB3_5
; %bb.1:
	s_load_b32 s0, s[42:43], 0x0
	s_bfe_u32 s1, ttmp6, 0x4000c
	s_and_b32 s3, ttmp6, 15
	s_add_co_i32 s1, s1, 1
	s_getreg_b32 s4, hwreg(HW_REG_IB_STS2, 6, 4)
	s_mul_i32 s1, ttmp9, s1
	v_mov_b32_e32 v2, v40
	s_add_co_i32 s3, s3, s1
	s_cmp_eq_u32 s4, 0
                                        ; implicit-def: $vgpr3
	s_cselect_b32 s1, ttmp9, s3
	s_mov_b32 s3, 0
	s_wait_kmcnt 0x0
	s_cmp_lt_u32 s1, s0
	s_mov_b32 s1, 0
	s_cselect_b32 s0, 12, 18
	s_delay_alu instid0(SALU_CYCLE_1)
	s_add_nc_u64 s[4:5], s[42:43], s[0:1]
	s_load_u16 s0, s[4:5], 0x0
	s_trap 2
	ds_load_b32 v1, v0
	s_wait_dscnt 0x0
	s_wait_kmcnt 0x0
	v_mul_lo_u32 v1, v1, s0
	s_branch .LBB3_3
.LBB3_2:                                ;   in Loop: Header=BB3_3 Depth=1
	s_or_b32 exec_lo, exec_lo, s4
	v_dual_add_nc_u32 v2, s0, v2 :: v_dual_add_nc_u32 v3, v3, v1
	s_delay_alu instid0(VALU_DEP_1) | instskip(SKIP_1) | instid1(SALU_CYCLE_1)
	v_cmp_ge_i32_e32 vcc_lo, v2, v0
	s_or_b32 s3, vcc_lo, s3
	s_and_not1_b32 exec_lo, exec_lo, s3
	s_cbranch_execz .LBB3_5
.LBB3_3:                                ; =>This Inner Loop Header: Depth=1
	ds_load_b32 v4, v3
	s_mov_b32 s4, exec_lo
	s_wait_dscnt 0x0
	v_and_b32_e32 v4, 0x1000000, v4
	s_delay_alu instid0(VALU_DEP_1)
	v_cmpx_ne_u32_e32 0, v4
	s_cbranch_execz .LBB3_2
; %bb.4:                                ;   in Loop: Header=BB3_3 Depth=1
	ds_load_b64 v[4:5], v3 offset:104
	s_wait_dscnt 0x0
	flat_load_u16 v4, v[4:5]
	s_wait_xcnt 0x0
	v_mov_b32_e32 v5, s1
	s_wait_loadcnt_dscnt 0x0
	v_and_b32_e32 v4, 0xffff, v4
	ds_store_b64 v3, v[4:5] offset:104
	s_branch .LBB3_2
.LBB3_5:
	s_or_b32 exec_lo, exec_lo, s2
	s_wait_storecnt_dscnt 0x0
	s_barrier_signal -1
	s_barrier_wait -1
	s_trap 2
	ds_load_b32 v0, v0
	s_wait_dscnt 0x0
	v_cmp_gt_i32_e32 vcc_lo, 1, v0
	s_cbranch_vccnz .LBB3_13
; %bb.6:
	s_mov_b32 s46, 0
	s_get_pc_i64 s[44:45]
	s_add_nc_u64 s[44:45], s[44:45], _ZN12_GLOBAL__N_17runRingI6__half10FuncMinMaxIS1_E7ProtoLLLi0ELi2ELi0EEEviiP15ncclDevWorkColl@rel64+4
	s_branch .LBB3_8
.LBB3_7:                                ;   in Loop: Header=BB3_8 Depth=1
	s_or_b32 exec_lo, exec_lo, s47
	s_trap 2
	ds_load_b32 v0, v0
	s_add_co_i32 s46, s46, 1
	s_wait_dscnt 0x0
	v_cmp_lt_i32_e32 vcc_lo, s46, v0
	s_cbranch_vccz .LBB3_13
.LBB3_8:                                ; =>This Inner Loop Header: Depth=1
	s_trap 2
	ds_load_b32 v0, v0
	s_cmp_eq_u32 s46, 0
	s_cbranch_scc1 .LBB3_11
; %bb.9:                                ;   in Loop: Header=BB3_8 Depth=1
	s_trap 2
	s_wait_dscnt 0x0
	ds_load_b32 v1, v0
	s_wait_dscnt 0x0
	v_xor_b32_e32 v1, v1, v0
	s_delay_alu instid0(VALU_DEP_1) | instskip(NEXT) | instid1(VALU_DEP_1)
	v_and_b32_e32 v1, 0xff0000, v1
	v_cmp_eq_u32_e32 vcc_lo, 0, v1
	s_cbranch_vccnz .LBB3_11
; %bb.10:                               ;   in Loop: Header=BB3_8 Depth=1
	s_barrier_signal -1
	s_barrier_wait -1
	ds_load_b32 v0, v0
.LBB3_11:                               ;   in Loop: Header=BB3_8 Depth=1
	s_wait_dscnt 0x0
	v_lshrrev_b32_e32 v0, 11, v0
	s_mov_b32 s47, exec_lo
	s_delay_alu instid0(VALU_DEP_1) | instskip(NEXT) | instid1(VALU_DEP_1)
	v_and_b32_e32 v1, 0x1fe0, v0
	v_cmpx_lt_u32_e64 v40, v1
	s_cbranch_execz .LBB3_7
; %bb.12:                               ;   in Loop: Header=BB3_8 Depth=1
	s_mov_b64 s[0:1], src_shared_base
	s_delay_alu instid0(SALU_CYCLE_1)
	v_dual_mov_b32 v0, v40 :: v_dual_mov_b32 v3, s1
	s_mov_b64 s[8:9], s[42:43]
	s_mov_b32 s12, s41
	s_swap_pc_i64 s[30:31], s[44:45]
	s_branch .LBB3_7
.LBB3_13:
	scratch_load_b32 v40, off, s33          ; 4-byte Folded Reload
	v_readlane_b32 s30, v41, 0
	v_readlane_b32 s31, v41, 1
	s_mov_b32 s32, s33
	s_wait_xcnt 0x0
	s_or_saveexec_b32 s0, -1
	scratch_load_b32 v41, off, s33 offset:4 ; 4-byte Folded Reload
	s_wait_xcnt 0x0
	s_mov_b32 exec_lo, s0
	s_mov_b32 s33, s56
	s_wait_loadcnt 0x0
	s_set_pc_i64 s[30:31]
.Lfunc_end3:
	.size	_Z50ncclDevFunc_ReduceScatter_RING_LL_MinMax_f16_0_0_2v, .Lfunc_end3-_Z50ncclDevFunc_ReduceScatter_RING_LL_MinMax_f16_0_0_2v
                                        ; -- End function
	.set .L_Z50ncclDevFunc_ReduceScatter_RING_LL_MinMax_f16_0_0_2v.num_vgpr, max(42, .L_ZN12_GLOBAL__N_17runRingI6__half10FuncMinMaxIS1_E7ProtoLLLi0ELi2ELi0EEEviiP15ncclDevWorkColl.num_vgpr)
	.set .L_Z50ncclDevFunc_ReduceScatter_RING_LL_MinMax_f16_0_0_2v.num_agpr, max(0, .L_ZN12_GLOBAL__N_17runRingI6__half10FuncMinMaxIS1_E7ProtoLLLi0ELi2ELi0EEEviiP15ncclDevWorkColl.num_agpr)
	.set .L_Z50ncclDevFunc_ReduceScatter_RING_LL_MinMax_f16_0_0_2v.numbered_sgpr, max(57, .L_ZN12_GLOBAL__N_17runRingI6__half10FuncMinMaxIS1_E7ProtoLLLi0ELi2ELi0EEEviiP15ncclDevWorkColl.numbered_sgpr)
	.set .L_Z50ncclDevFunc_ReduceScatter_RING_LL_MinMax_f16_0_0_2v.num_named_barrier, max(0, .L_ZN12_GLOBAL__N_17runRingI6__half10FuncMinMaxIS1_E7ProtoLLLi0ELi2ELi0EEEviiP15ncclDevWorkColl.num_named_barrier)
	.set .L_Z50ncclDevFunc_ReduceScatter_RING_LL_MinMax_f16_0_0_2v.private_seg_size, 16+max(.L_ZN12_GLOBAL__N_17runRingI6__half10FuncMinMaxIS1_E7ProtoLLLi0ELi2ELi0EEEviiP15ncclDevWorkColl.private_seg_size)
	.set .L_Z50ncclDevFunc_ReduceScatter_RING_LL_MinMax_f16_0_0_2v.uses_vcc, or(1, .L_ZN12_GLOBAL__N_17runRingI6__half10FuncMinMaxIS1_E7ProtoLLLi0ELi2ELi0EEEviiP15ncclDevWorkColl.uses_vcc)
	.set .L_Z50ncclDevFunc_ReduceScatter_RING_LL_MinMax_f16_0_0_2v.uses_flat_scratch, or(0, .L_ZN12_GLOBAL__N_17runRingI6__half10FuncMinMaxIS1_E7ProtoLLLi0ELi2ELi0EEEviiP15ncclDevWorkColl.uses_flat_scratch)
	.set .L_Z50ncclDevFunc_ReduceScatter_RING_LL_MinMax_f16_0_0_2v.has_dyn_sized_stack, or(0, .L_ZN12_GLOBAL__N_17runRingI6__half10FuncMinMaxIS1_E7ProtoLLLi0ELi2ELi0EEEviiP15ncclDevWorkColl.has_dyn_sized_stack)
	.set .L_Z50ncclDevFunc_ReduceScatter_RING_LL_MinMax_f16_0_0_2v.has_recursion, or(1, .L_ZN12_GLOBAL__N_17runRingI6__half10FuncMinMaxIS1_E7ProtoLLLi0ELi2ELi0EEEviiP15ncclDevWorkColl.has_recursion)
	.set .L_Z50ncclDevFunc_ReduceScatter_RING_LL_MinMax_f16_0_0_2v.has_indirect_call, or(0, .L_ZN12_GLOBAL__N_17runRingI6__half10FuncMinMaxIS1_E7ProtoLLLi0ELi2ELi0EEEviiP15ncclDevWorkColl.has_indirect_call)
	.section	.AMDGPU.csdata,"",@progbits
; Function info:
; codeLenInByte = 684
; TotalNumSgprs: 59
; NumVgprs: 120
; ScratchSize: 108
; MemoryBound: 0
	.text
	.p2align	2                               ; -- Begin function _ZN12_GLOBAL__N_17runRingI6__half10FuncMinMaxIS1_E7ProtoLLLi0ELi4ELi0EEEviiP15ncclDevWorkColl
	.type	_ZN12_GLOBAL__N_17runRingI6__half10FuncMinMaxIS1_E7ProtoLLLi0ELi4ELi0EEEviiP15ncclDevWorkColl,@function
_ZN12_GLOBAL__N_17runRingI6__half10FuncMinMaxIS1_E7ProtoLLLi0ELi4ELi0EEEviiP15ncclDevWorkColl: ; @_ZN12_GLOBAL__N_17runRingI6__half10FuncMinMaxIS1_E7ProtoLLLi0ELi4ELi0EEEviiP15ncclDevWorkColl
; %bb.0:
	s_wait_loadcnt_dscnt 0x0
	s_wait_kmcnt 0x0
	s_clause 0x15
	scratch_store_b32 off, v40, s32 offset:84
	; meta instruction
	scratch_store_b32 off, v41, s32 offset:80
	; meta instruction
	;; [unrolled: 2-line block ×21, first 2 shown]
	scratch_store_b32 off, v77, s32
	s_trap 2
	s_clause 0x2
	flat_load_b32 v12, v[2:3]
	flat_load_b128 v[4:7], v[2:3] offset:72
	flat_load_b64 v[70:71], v[2:3] offset:88
	v_mov_b32_e32 v20, v1
	ds_load_b32 v8, v0
	ds_load_b64 v[22:23], v0
	s_mov_b32 s0, exec_lo
                                        ; implicit-def: $vgpr18_vgpr19
                                        ; implicit-def: $vgpr24_vgpr25
	s_wait_dscnt 0x1
	v_readfirstlane_b32 s14, v8
	s_wait_loadcnt 0x2
	v_bfe_u32 v9, v12, 8, 8
	v_bitop3_b32 v1, v12, 0xff, v12 bitop3:0x3f
	s_delay_alu instid0(VALU_DEP_1) | instskip(NEXT) | instid1(VALU_DEP_1)
	v_add_nc_u32_e32 v10, v9, v1
	v_ashrrev_i32_e32 v11, 31, v10
	s_wait_loadcnt 0x1
	s_delay_alu instid0(VALU_DEP_1) | instskip(SKIP_2) | instid1(VALU_DEP_1)
	v_mul_u64_e32 v[68:69], v[6:7], v[10:11]
	v_and_b32_e32 v10, 0xff, v12
	s_wait_xcnt 0x0
	v_cmpx_ne_u32_e64 v8, v10
	s_xor_b32 s0, exec_lo, s0
	s_cbranch_execz .LBB4_6
; %bb.1:
	s_mov_b32 s1, exec_lo
                                        ; implicit-def: $vgpr18_vgpr19
                                        ; implicit-def: $vgpr24_vgpr25
	v_cmpx_ne_u32_e64 v8, v9
	s_xor_b32 s1, exec_lo, s1
	s_cbranch_execz .LBB4_3
; %bb.2:
	flat_load_b64 v[10:11], v[2:3] offset:96
	v_add_nc_u32_e32 v1, v8, v1
	s_delay_alu instid0(VALU_DEP_1) | instskip(NEXT) | instid1(VALU_DEP_1)
	v_mad_nc_u64_u32 v[24:25], v6, v1, v[4:5]
	v_mad_u32 v8, v7, v1, v25
	v_ashrrev_i32_e32 v1, 31, v1
	s_delay_alu instid0(VALU_DEP_1)
	v_mad_u32 v25, v6, v1, v8
	s_wait_loadcnt_dscnt 0x0
	v_lshrrev_b64 v[18:19], 18, v[10:11]
.LBB4_3:
	s_wait_xcnt 0x0
	s_and_not1_saveexec_b32 s1, s1
	s_cbranch_execz .LBB4_5
; %bb.4:
	flat_load_b32 v1, v[2:3] offset:100
	v_add_nc_u64_e32 v[24:25], v[68:69], v[4:5]
	s_wait_loadcnt 0x1
	v_mov_b64_e32 v[6:7], v[70:71]
	s_wait_loadcnt_dscnt 0x0
	v_lshrrev_b32_e32 v18, 7, v1
.LBB4_5:
	s_wait_xcnt 0x0
	s_or_b32 exec_lo, exec_lo, s1
.LBB4_6:
	s_and_not1_saveexec_b32 s0, s0
	s_cbranch_execz .LBB4_8
; %bb.7:
	flat_load_b64 v[6:7], v[2:3] offset:96
	v_mov_b64_e32 v[24:25], 0
	s_wait_loadcnt_dscnt 0x0
	v_lshlrev_b64_e32 v[18:19], 3, v[6:7]
	v_mov_b64_e32 v[6:7], v[4:5]
.LBB4_8:
	s_wait_xcnt 0x0
	s_or_b32 exec_lo, exec_lo, s0
	s_load_b32 s0, s[8:9], 0x0
	s_clause 0x2
	flat_load_b64 v[84:85], v[2:3] offset:104
	flat_load_u16 v13, v[2:3] offset:8
	flat_load_b32 v12, v[2:3] offset:4
	s_bfe_u32 s1, ttmp6, 0x4000c
	s_and_b32 s2, ttmp6, 15
	s_add_co_i32 s1, s1, 1
	s_getreg_b32 s3, hwreg(HW_REG_IB_STS2, 6, 4)
	s_mul_i32 s1, ttmp9, s1
	v_mov_b32_e32 v14, 0
	s_add_co_i32 s2, s2, s1
	s_cmp_eq_u32 s3, 0
	s_mov_b32 s1, 0
	s_cselect_b32 s2, ttmp9, s2
	v_mov_b64_e32 v[26:27], 0
	s_wait_kmcnt 0x0
	s_cmp_lt_u32 s2, s0
	s_cselect_b32 s0, 12, 18
	s_delay_alu instid0(SALU_CYCLE_1)
	s_add_nc_u64 s[2:3], s[8:9], s[0:1]
	flat_load_b128 v[8:11], v[2:3] offset:16
	global_load_u16 v1, v14, s[2:3]
	s_trap 2
	s_wait_xcnt 0x1
	ds_load_b32 v2, v0
	s_wait_dscnt 0x0
	v_cmp_gt_i32_e32 vcc_lo, 0, v2
	s_wait_xcnt 0x0
	v_readfirstlane_b32 s2, v2
	s_and_b32 vcc_lo, exec_lo, vcc_lo
	s_wait_loadcnt 0x2
	v_lshrrev_b64 v[14:15], 31, v[12:13]
	v_and_b32_e32 v12, 31, v0
	s_delay_alu instid0(VALU_DEP_1) | instskip(NEXT) | instid1(VALU_DEP_3)
	v_cmp_eq_u32_e64 s0, 0, v12
	v_and_b32_e32 v3, 3, v14
	s_delay_alu instid0(VALU_DEP_1)
	v_and_b32_e32 v13, 0xffff, v3
	s_cbranch_vccnz .LBB4_10
; %bb.9:
	s_trap 2
	ds_load_b64 v[14:15], v0
	s_mov_b32 s1, 1
	s_wait_dscnt 0x0
	v_readfirstlane_b32 s4, v14
	v_readfirstlane_b32 s5, v15
	flat_load_b64 v[2:3], v2, s[4:5] scale_offset
	s_wait_loadcnt_dscnt 0x0
	v_mad_nc_u64_u32 v[2:3], 0xa8, v13, v[2:3]
	s_clause 0x1
	flat_load_b64 v[32:33], v[2:3] offset:504
	flat_load_b64 v[34:35], v[2:3] offset:608
	v_add_nc_u64_e32 v[28:29], 0x1f8, v[2:3]
	s_wait_xcnt 0x0
	s_delay_alu instid0(VALU_DEP_1)
	v_dual_cndmask_b32 v3, 0, v29, s0 :: v_dual_cndmask_b32 v2, 0, v28, s0
	s_branch .LBB4_11
.LBB4_10:
	v_mov_b64_e32 v[28:29], 0
	v_mov_b64_e32 v[2:3], 0
                                        ; implicit-def: $vgpr34_vgpr35
                                        ; implicit-def: $vgpr32_vgpr33
.LBB4_11:
	s_trap 2
	ds_load_b32 v14, v0
	s_wait_dscnt 0x0
	v_cmp_gt_i32_e32 vcc_lo, 0, v14
	s_cbranch_vccnz .LBB4_13
; %bb.12:
	s_trap 2
	ds_load_b64 v[16:17], v0
	v_cmp_eq_u32_e32 vcc_lo, 0, v12
	s_wait_dscnt 0x0
	v_readfirstlane_b32 s4, v16
	v_readfirstlane_b32 s5, v17
	flat_load_b64 v[14:15], v14, s[4:5] scale_offset
	s_wait_loadcnt_dscnt 0x0
	v_mad_nc_u64_u32 v[26:27], 0xa8, v13, v[14:15]
	s_clause 0x1
	flat_load_b64 v[36:37], v[26:27]
	flat_load_b64 v[16:17], v[26:27] offset:104
	v_dual_cndmask_b32 v53, 0, v27 :: v_dual_cndmask_b32 v52, 0, v26
	s_branch .LBB4_14
.LBB4_13:
	v_mov_b64_e32 v[52:53], 0
                                        ; implicit-def: $vgpr16_vgpr17
                                        ; implicit-def: $vgpr36_vgpr37
.LBB4_14:
	v_subrev_nc_u32_e32 v13, 32, v20
	v_cmp_gt_u32_e32 vcc_lo, s1, v12
	v_mov_b64_e32 v[48:49], 0
	v_mov_b64_e32 v[50:51], 0
                                        ; implicit-def: $vgpr38_vgpr39
	s_delay_alu instid0(VALU_DEP_4)
	v_cmp_ge_i32_e64 s0, v0, v13
	s_and_b32 s13, s0, vcc_lo
	s_wait_xcnt 0x0
	s_and_saveexec_b32 s0, s13
	s_cbranch_execz .LBB4_16
; %bb.15:
	s_clause 0x1
	flat_load_b64 v[50:51], v[2:3] offset:56
	flat_load_b64 v[38:39], v[2:3] offset:104
.LBB4_16:
	s_wait_xcnt 0x0
	s_or_b32 exec_lo, exec_lo, s0
	v_mov_b64_e32 v[12:13], 0
	v_cmp_gt_u32_e64 s0, s1, v0
                                        ; implicit-def: $vgpr54_vgpr55
	s_and_saveexec_b32 s1, s0
	s_cbranch_execz .LBB4_18
; %bb.17:
	flat_load_b64 v[48:49], v[52:53] offset:56
	s_wait_loadcnt_dscnt 0x0
	flat_load_b64 v[54:55], v[48:49] scope:SCOPE_SYS
	s_wait_loadcnt 0x0
	flat_load_b128 v[12:15], v[52:53] offset:96
.LBB4_18:
	s_wait_xcnt 0x0
	s_or_b32 exec_lo, exec_lo, s1
	v_mov_b64_e32 v[64:65], 0
	s_wait_loadcnt 0x0
	v_and_b32_e32 v113, 0xffff, v1
	s_mov_b32 s16, exec_lo
	v_cmpx_ne_u64_e32 0, v[6:7]
	s_cbranch_execnz .LBB4_34
; %bb.19:
	s_or_b32 exec_lo, exec_lo, s16
	s_and_saveexec_b32 s1, s13
	s_cbranch_execnz .LBB4_312
.LBB4_20:
	s_or_b32 exec_lo, exec_lo, s1
	s_and_saveexec_b32 s1, s0
	s_cbranch_execz .LBB4_22
.LBB4_21:
	s_wait_dscnt 0x0
	flat_store_b64 v[26:27], v[14:15] offset:104
.LBB4_22:
	s_wait_xcnt 0x0
	s_or_b32 exec_lo, exec_lo, s1
	s_delay_alu instid0(SALU_CYCLE_1)
	s_mov_b32 s0, exec_lo
	v_cmpx_ne_u32_e32 32, v20
	s_cbranch_execz .LBB4_319
; %bb.23:
	s_mov_b32 s1, exec_lo
	v_cmpx_ne_u32_e64 v20, v113
	s_xor_b32 s1, exec_lo, s1
	s_cbranch_execz .LBB4_317
; %bb.24:
	v_and_b32_e32 v0, 31, v31
	s_mov_b32 s2, exec_lo
	s_delay_alu instid0(VALU_DEP_1)
	v_cmpx_eq_u32_e32 0, v0
	s_cbranch_execz .LBB4_316
; %bb.25:
	s_mov_b32 s4, exec_lo
	s_mov_b32 s3, exec_lo
	v_mbcnt_lo_u32_b32 v0, s4, 0
	global_wb scope:SCOPE_DEV
	s_wait_storecnt 0x0
	s_wait_loadcnt_dscnt 0x0
	global_inv scope:SCOPE_DEV
	v_cmpx_eq_u32_e32 0, v0
	s_cbranch_execz .LBB4_27
; %bb.26:
	s_bcnt1_i32_b32 s4, s4
	s_delay_alu instid0(SALU_CYCLE_1)
	v_dual_mov_b32 v1, 0 :: v_dual_mov_b32 v0, s4
	s_wait_loadcnt 0x0
	ds_add_u64 v0, v[0:1]
	s_trap 2
.LBB4_27:
	s_or_b32 exec_lo, exec_lo, s3
	s_trap 2
	ds_load_b64 v[2:3], v0
	s_wait_dscnt 0x0
	v_dual_mov_b32 v1, 0 :: v_dual_lshrrev_b32 v0, 5, v20
	s_mov_b32 s3, exec_lo
	s_delay_alu instid0(VALU_DEP_1) | instskip(NEXT) | instid1(VALU_DEP_1)
	v_add_nc_u64_e32 v[0:1], v[64:65], v[0:1]
	v_cmpx_lt_u64_e64 v[2:3], v[0:1]
	s_cbranch_execz .LBB4_315
; %bb.28:
	s_mov_b32 s4, 0
	s_mov_b32 s7, 0
                                        ; implicit-def: $sgpr5
                                        ; implicit-def: $sgpr6
	s_branch .LBB4_30
.LBB4_29:                               ;   in Loop: Header=BB4_30 Depth=1
	s_or_b32 exec_lo, exec_lo, s9
	s_delay_alu instid0(SALU_CYCLE_1) | instskip(NEXT) | instid1(SALU_CYCLE_1)
	s_and_b32 s8, exec_lo, s10
	s_or_b32 s4, s8, s4
	s_and_not1_b32 s5, s5, exec_lo
	s_and_b32 s8, s6, exec_lo
	s_delay_alu instid0(SALU_CYCLE_1)
	s_or_b32 s5, s5, s8
	s_and_not1_b32 exec_lo, exec_lo, s4
	s_cbranch_execz .LBB4_313
.LBB4_30:                               ; =>This Inner Loop Header: Depth=1
	s_add_co_i32 s7, s7, 1
	s_delay_alu instid0(SALU_CYCLE_1) | instskip(SKIP_1) | instid1(SALU_CYCLE_1)
	s_cmp_lg_u32 s7, 0x2710
	s_cselect_b32 s8, -1, 0
	s_and_b32 vcc_lo, exec_lo, s8
	s_cbranch_vccz .LBB4_32
; %bb.31:                               ;   in Loop: Header=BB4_30 Depth=1
	s_mov_b32 s10, -1
	s_or_b32 s6, s6, exec_lo
	s_and_saveexec_b32 s9, s8
	s_cbranch_execz .LBB4_29
	s_branch .LBB4_33
.LBB4_32:                               ;   in Loop: Header=BB4_30 Depth=1
	s_trap 2
	ds_load_b64 v[2:3], v0
	s_and_not1_b32 s8, s8, exec_lo
	s_mov_b32 s7, 0
	s_wait_loadcnt_dscnt 0x0
	flat_load_b32 v2, v[2:3] scope:SCOPE_SYS
	s_wait_loadcnt_dscnt 0x0
	global_inv scope:SCOPE_SYS
	v_cmp_eq_u32_e32 vcc_lo, 0, v2
	s_and_b32 s9, vcc_lo, exec_lo
	s_delay_alu instid0(SALU_CYCLE_1)
	s_or_b32 s8, s8, s9
	s_mov_b32 s10, -1
	s_or_b32 s6, s6, exec_lo
	s_and_saveexec_b32 s9, s8
	s_cbranch_execz .LBB4_29
.LBB4_33:                               ;   in Loop: Header=BB4_30 Depth=1
	s_sleep 1
	s_trap 2
	ds_load_b64 v[2:3], v0
	s_wait_dscnt 0x0
	s_and_not1_b32 s6, s6, exec_lo
	v_cmp_ge_u64_e32 vcc_lo, v[2:3], v[0:1]
	s_or_not1_b32 s10, vcc_lo, exec_lo
	s_branch .LBB4_29
.LBB4_34:
	v_add_nc_u64_e32 v[2:3], v[70:71], v[4:5]
	v_dual_mov_b32 v53, 0 :: v_dual_bitop2_b32 v1, 31, v31 bitop3:0x40
	s_ashr_i32 s1, s2, 31
	v_dual_lshlrev_b32 v52, 3, v0 :: v_dual_lshlrev_b32 v30, 2, v0
	s_lshr_b32 s1, s1, 29
	s_delay_alu instid0(VALU_DEP_3) | instskip(SKIP_4) | instid1(VALU_DEP_4)
	v_add_nc_u64_e32 v[68:69], v[2:3], v[68:69]
	v_and_b32_e32 v2, 1, v84
	v_cmp_eq_u32_e64 s5, 0, v1
	v_dual_mov_b32 v1, v53 :: v_dual_mov_b32 v3, v53
	v_mov_b32_e32 v21, v53
	v_cmp_eq_u32_e64 s6, 1, v2
	v_dual_lshlrev_b32 v19, 1, v18 :: v_dual_bitop2_b32 v2, 1, v8 bitop3:0x40
	s_add_co_i32 s2, s2, s1
	s_ashr_i32 s15, s14, 31
	v_mov_b32_e32 v83, v53
	v_lshl_add_u64 v[4:5], v[0:1], 3, v[10:11]
	v_cmp_eq_u64_e64 s8, 0, v[2:3]
	v_lshl_add_u32 v2, v24, 1, v52
	v_lshlrev_b32_e32 v3, 4, v18
	s_ashr_i32 s4, s2, 3
	s_ashr_i32 s17, s2, 7
	s_lshl_b64 s[2:3], s[14:15], 2
	v_mov_b64_e32 v[80:81], 0
	v_add_nc_u64_e32 v[70:71], s[2:3], v[22:23]
	v_cmp_ne_u64_e64 s1, 0, v[48:49]
	s_wait_dscnt 0x0
	v_cmp_ne_u64_e64 s2, 0, v[12:13]
	v_add_nc_u64_e32 v[84:85], v[10:11], v[52:53]
	v_cmp_ne_u64_e64 s7, 0, v[50:51]
	v_add_nc_u64_e32 v[8:9], v[8:9], v[52:53]
	v_lshlrev_b64_e32 v[98:99], 1, v[68:69]
	v_lshlrev_b64_e32 v[100:101], 3, v[20:21]
	;; [unrolled: 1-line block ×3, first 2 shown]
	v_mov_b64_e32 v[64:65], 0
	v_and_b32_e32 v66, 0xfffff8, v18
	v_dual_mov_b32 v67, v53 :: v_dual_lshrrev_b32 v82, 5, v20
	s_and_b32 s15, s4, -16
	v_cmp_ne_u32_e64 s3, 32, v20
	v_cmp_ne_u32_e64 s4, v20, v113
	v_lshl_add_u64 v[86:87], v[24:25], 1, v[4:5]
	v_and_b32_e32 v96, 0x1fffff0, v19
	v_dual_mov_b32 v97, v53 :: v_dual_lshlrev_b32 v58, 4, v68
	v_add_lshl_u32 v56, v2, v10, 3
	v_and_b32_e32 v57, 0xfffff80, v3
	v_dual_mov_b32 v60, 1 :: v_dual_lshlrev_b32 v59, 6, v20
	v_dual_mov_b32 v61, 0 :: v_dual_lshlrev_b32 v112, 2, v20
	v_lshl_add_u64 v[114:115], v[0:1], 4, v[36:37]
	s_cmp_gt_i32 s14, 2
	s_mov_b32 s18, 0
	s_cselect_b32 s19, -1, 0
	s_branch .LBB4_36
.LBB4_35:                               ;   in Loop: Header=BB4_36 Depth=1
	s_wait_xcnt 0x0
	s_or_b32 exec_lo, exec_lo, s9
	v_add_nc_u64_e32 v[80:81], v[80:81], v[66:67]
	v_add_nc_u64_e32 v[34:35], 1, v[34:35]
	;; [unrolled: 1-line block ×3, first 2 shown]
	v_add_nc_u32_e32 v56, v56, v57
	s_delay_alu instid0(VALU_DEP_4) | instskip(SKIP_1) | instid1(SALU_CYCLE_1)
	v_cmp_ge_u64_e32 vcc_lo, v[80:81], v[6:7]
	s_or_b32 s18, vcc_lo, s18
	s_and_not1_b32 exec_lo, exec_lo, s18
	s_cbranch_execz .LBB4_311
.LBB4_36:                               ; =>This Loop Header: Depth=1
                                        ;     Child Loop BB4_41 Depth 2
                                        ;     Child Loop BB4_60 Depth 2
	;; [unrolled: 1-line block ×5, first 2 shown]
                                        ;       Child Loop BB4_90 Depth 3
                                        ;       Child Loop BB4_109 Depth 3
	;; [unrolled: 1-line block ×3, first 2 shown]
                                        ;         Child Loop BB4_139 Depth 4
                                        ;       Child Loop BB4_201 Depth 3
                                        ;       Child Loop BB4_126 Depth 3
                                        ;     Child Loop BB4_217 Depth 2
                                        ;       Child Loop BB4_225 Depth 3
                                        ;     Child Loop BB4_299 Depth 2
	s_wait_loadcnt_dscnt 0x0
	flat_load_b32 v19, v[70:71] offset:-4
	v_sub_nc_u64_e32 v[2:3], v[6:7], v[80:81]
	s_delay_alu instid0(VALU_DEP_1) | instskip(NEXT) | instid1(VALU_DEP_1)
	v_min_u64 v[2:3], v[66:67], v[2:3]
	v_lshl_add_u32 v1, v2, 2, 12
	s_delay_alu instid0(VALU_DEP_1)
	v_and_b32_e32 v21, 0x7fffff0, v1
	s_wait_xcnt 0x0
	s_and_saveexec_b32 s10, s1
	s_cbranch_execz .LBB4_52
; %bb.37:                               ;   in Loop: Header=BB4_36 Depth=1
	v_add_nc_u64_e32 v[4:5], 1, v[14:15]
	v_add_nc_u64_e32 v[116:117], 8, v[54:55]
	s_mov_b32 s11, exec_lo
	s_delay_alu instid0(VALU_DEP_1)
	v_cmpx_lt_u64_e64 v[116:117], v[4:5]
	s_cbranch_execz .LBB4_49
; %bb.38:                               ;   in Loop: Header=BB4_36 Depth=1
	s_mov_b32 s12, 0
	s_mov_b32 s23, 0
	v_cmp_eq_u32_e32 vcc_lo, 0, v61
                                        ; implicit-def: $sgpr20
                                        ; implicit-def: $sgpr21
                                        ; implicit-def: $sgpr22
	s_branch .LBB4_41
.LBB4_39:                               ;   in Loop: Header=BB4_41 Depth=2
	s_or_b32 exec_lo, exec_lo, s28
	s_delay_alu instid0(SALU_CYCLE_1)
	s_and_not1_b32 s9, s22, exec_lo
	s_and_b32 s22, s26, exec_lo
	s_and_not1_b32 s21, s21, exec_lo
	s_and_b32 s25, s25, exec_lo
	s_or_b32 s22, s9, s22
	s_or_b32 s21, s21, s25
.LBB4_40:                               ;   in Loop: Header=BB4_41 Depth=2
	s_or_b32 exec_lo, exec_lo, s24
	s_delay_alu instid0(SALU_CYCLE_1) | instskip(NEXT) | instid1(SALU_CYCLE_1)
	s_and_b32 s9, exec_lo, s21
	s_or_b32 s12, s9, s12
	s_and_not1_b32 s9, s20, exec_lo
	s_and_b32 s20, s22, exec_lo
	s_delay_alu instid0(SALU_CYCLE_1)
	s_or_b32 s20, s9, s20
	s_and_not1_b32 exec_lo, exec_lo, s12
	s_cbranch_execz .LBB4_46
.LBB4_41:                               ;   Parent Loop BB4_36 Depth=1
                                        ; =>  This Inner Loop Header: Depth=2
	s_sleep 1
	s_wait_loadcnt_dscnt 0x0
	flat_load_b64 v[54:55], v[48:49] scope:SCOPE_DEV
	v_mov_b32_e32 v61, 1
	s_or_b32 s22, s22, exec_lo
	s_or_b32 s21, s21, exec_lo
                                        ; implicit-def: $vgpr1
	s_wait_xcnt 0x0
	s_and_saveexec_b32 s24, vcc_lo
	s_cbranch_execz .LBB4_40
; %bb.42:                               ;   in Loop: Header=BB4_41 Depth=2
	s_add_co_i32 s23, s23, 1
	s_mov_b32 s25, -1
	s_cmp_lg_u32 s23, 0x2710
	s_mov_b32 s26, -1
	s_cselect_b32 s27, -1, 0
	s_cmp_eq_u32 s23, 0x2710
                                        ; implicit-def: $vgpr1
	s_cbranch_scc1 .LBB4_44
; %bb.43:                               ;   in Loop: Header=BB4_41 Depth=2
	v_mov_b32_e32 v61, 1
	s_and_saveexec_b32 s28, s27
	s_cbranch_execz .LBB4_39
	s_branch .LBB4_45
.LBB4_44:                               ;   in Loop: Header=BB4_41 Depth=2
	s_trap 2
	ds_load_b64 v[116:117], v0
	s_and_not1_b32 s23, s27, exec_lo
	s_mov_b32 s26, 0
	s_wait_storecnt 0x0
	s_wait_loadcnt_dscnt 0x0
	flat_load_b32 v1, v[116:117] scope:SCOPE_SYS
	s_wait_loadcnt_dscnt 0x0
	global_inv scope:SCOPE_SYS
	v_cmp_eq_u32_e64 s9, 0, v1
	s_and_b32 s9, s9, exec_lo
	s_delay_alu instid0(SALU_CYCLE_1)
	s_or_b32 s27, s23, s9
	s_mov_b32 s23, 0
	v_mov_b32_e32 v61, 1
	s_and_saveexec_b32 s28, s27
	s_cbranch_execz .LBB4_39
.LBB4_45:                               ;   in Loop: Header=BB4_41 Depth=2
	s_wait_loadcnt_dscnt 0x0
	v_add_nc_u64_e32 v[116:117], 8, v[54:55]
	v_mov_b32_e32 v61, 0
	s_or_b32 s26, s26, exec_lo
	s_delay_alu instid0(VALU_DEP_2)
	v_cmp_ge_u64_e64 s9, v[116:117], v[4:5]
	s_or_not1_b32 s25, s9, exec_lo
	s_branch .LBB4_39
.LBB4_46:                               ;   in Loop: Header=BB4_36 Depth=1
	s_or_b32 exec_lo, exec_lo, s12
	s_xor_b32 s9, s20, -1
	s_delay_alu instid0(SALU_CYCLE_1) | instskip(NEXT) | instid1(SALU_CYCLE_1)
	s_and_saveexec_b32 s12, s9
	s_xor_b32 s9, exec_lo, s12
	s_cbranch_execz .LBB4_48
; %bb.47:                               ;   in Loop: Header=BB4_36 Depth=1
	v_mov_b32_e32 v61, 1
	s_wait_storecnt 0x0
	s_wait_loadcnt_dscnt 0x0
	ds_store_b32 v0, v1
	s_trap 2
.LBB4_48:                               ;   in Loop: Header=BB4_36 Depth=1
	s_or_b32 exec_lo, exec_lo, s9
.LBB4_49:                               ;   in Loop: Header=BB4_36 Depth=1
	s_delay_alu instid0(SALU_CYCLE_1)
	s_or_b32 exec_lo, exec_lo, s11
	s_and_saveexec_b32 s9, s2
	s_cbranch_execz .LBB4_51
; %bb.50:                               ;   in Loop: Header=BB4_36 Depth=1
	v_and_b32_e32 v52, 0x7ffffff8, v14
	s_delay_alu instid0(VALU_DEP_1) | instskip(SKIP_1) | instid1(VALU_DEP_1)
	v_cmp_eq_u64_e32 vcc_lo, 0x7ffffff8, v[52:53]
	v_cndmask_b32_e64 v116, v21, s15, vcc_lo
	v_dual_ashrrev_i32 v117, 31, v116 :: v_dual_bitop2_b32 v1, 7, v14 bitop3:0x40
	s_delay_alu instid0(VALU_DEP_1)
	v_mad_nc_u64_u32 v[14:15], v1, 24, v[12:13]
	flat_store_b64 v[14:15], v[116:117] offset:8 scope:SCOPE_SYS
	s_wait_storecnt 0x0
.LBB4_51:                               ;   in Loop: Header=BB4_36 Depth=1
	s_wait_xcnt 0x0
	s_or_b32 exec_lo, exec_lo, s9
	v_mov_b64_e32 v[14:15], v[4:5]
.LBB4_52:                               ;   in Loop: Header=BB4_36 Depth=1
	s_or_b32 exec_lo, exec_lo, s10
	s_and_saveexec_b32 s9, s3
	s_cbranch_execz .LBB4_71
; %bb.53:                               ;   in Loop: Header=BB4_36 Depth=1
	s_and_saveexec_b32 s10, s4
	s_delay_alu instid0(SALU_CYCLE_1)
	s_xor_b32 s10, exec_lo, s10
	s_cbranch_execz .LBB4_68
; %bb.54:                               ;   in Loop: Header=BB4_36 Depth=1
	s_and_saveexec_b32 s11, s5
	s_cbranch_execz .LBB4_67
; %bb.55:                               ;   in Loop: Header=BB4_36 Depth=1
	s_mov_b32 s20, exec_lo
	s_mov_b32 s12, exec_lo
	v_mbcnt_lo_u32_b32 v1, s20, 0
	global_wb scope:SCOPE_DEV
	s_wait_storecnt 0x0
	s_wait_loadcnt_dscnt 0x0
	global_inv scope:SCOPE_DEV
	v_cmpx_eq_u32_e32 0, v1
	s_cbranch_execz .LBB4_57
; %bb.56:                               ;   in Loop: Header=BB4_36 Depth=1
	s_bcnt1_i32_b32 s20, s20
	s_delay_alu instid0(SALU_CYCLE_1)
	v_mov_b32_e32 v52, s20
	s_wait_loadcnt 0x0
	ds_add_u64 v0, v[52:53]
	s_trap 2
.LBB4_57:                               ;   in Loop: Header=BB4_36 Depth=1
	s_or_b32 exec_lo, exec_lo, s12
	s_trap 2
	ds_load_b64 v[4:5], v0
	s_wait_dscnt 0x0
	v_add_nc_u64_e32 v[64:65], v[64:65], v[82:83]
	s_mov_b32 s12, exec_lo
	s_delay_alu instid0(VALU_DEP_1)
	v_cmpx_lt_u64_e64 v[4:5], v[64:65]
	s_cbranch_execz .LBB4_66
; %bb.58:                               ;   in Loop: Header=BB4_36 Depth=1
	s_mov_b32 s20, 0
	s_mov_b32 s23, 0
                                        ; implicit-def: $sgpr21
                                        ; implicit-def: $sgpr22
	s_branch .LBB4_60
.LBB4_59:                               ;   in Loop: Header=BB4_60 Depth=2
	s_or_b32 exec_lo, exec_lo, s25
	s_delay_alu instid0(SALU_CYCLE_1) | instskip(NEXT) | instid1(SALU_CYCLE_1)
	s_and_b32 s24, exec_lo, s26
	s_or_b32 s20, s24, s20
	s_and_not1_b32 s21, s21, exec_lo
	s_and_b32 s24, s22, exec_lo
	s_delay_alu instid0(SALU_CYCLE_1)
	s_or_b32 s21, s21, s24
	s_and_not1_b32 exec_lo, exec_lo, s20
	s_cbranch_execz .LBB4_64
.LBB4_60:                               ;   Parent Loop BB4_36 Depth=1
                                        ; =>  This Inner Loop Header: Depth=2
	s_add_co_i32 s23, s23, 1
	s_delay_alu instid0(SALU_CYCLE_1) | instskip(SKIP_1) | instid1(SALU_CYCLE_1)
	s_cmp_lg_u32 s23, 0x2710
	s_cselect_b32 s24, -1, 0
	s_and_b32 vcc_lo, exec_lo, s24
	s_cbranch_vccz .LBB4_62
; %bb.61:                               ;   in Loop: Header=BB4_60 Depth=2
	s_mov_b32 s26, -1
	s_or_b32 s22, s22, exec_lo
	s_and_saveexec_b32 s25, s24
	s_cbranch_execz .LBB4_59
	s_branch .LBB4_63
.LBB4_62:                               ;   in Loop: Header=BB4_60 Depth=2
	s_trap 2
	ds_load_b64 v[4:5], v0
	s_and_not1_b32 s24, s24, exec_lo
	s_mov_b32 s23, 0
	s_wait_loadcnt_dscnt 0x0
	flat_load_b32 v1, v[4:5] scope:SCOPE_SYS
	s_wait_loadcnt_dscnt 0x0
	global_inv scope:SCOPE_SYS
	v_cmp_eq_u32_e32 vcc_lo, 0, v1
	s_and_b32 s25, vcc_lo, exec_lo
	s_delay_alu instid0(SALU_CYCLE_1)
	s_or_b32 s24, s24, s25
	s_mov_b32 s26, -1
	s_or_b32 s22, s22, exec_lo
	s_and_saveexec_b32 s25, s24
	s_cbranch_execz .LBB4_59
.LBB4_63:                               ;   in Loop: Header=BB4_60 Depth=2
	s_sleep 1
	s_trap 2
	ds_load_b64 v[4:5], v0
	s_wait_dscnt 0x0
	s_and_not1_b32 s22, s22, exec_lo
	v_cmp_ge_u64_e32 vcc_lo, v[4:5], v[64:65]
	s_or_not1_b32 s26, vcc_lo, exec_lo
	s_branch .LBB4_59
.LBB4_64:                               ;   in Loop: Header=BB4_36 Depth=1
	s_or_b32 exec_lo, exec_lo, s20
	s_and_saveexec_b32 s20, s21
	s_delay_alu instid0(SALU_CYCLE_1)
	s_xor_b32 s20, exec_lo, s20
	s_cbranch_execz .LBB4_66
; %bb.65:                               ;   in Loop: Header=BB4_36 Depth=1
	ds_store_b32 v0, v60
	s_trap 2
.LBB4_66:                               ;   in Loop: Header=BB4_36 Depth=1
	s_or_b32 exec_lo, exec_lo, s12
	;;#ASMSTART
	s_wakeup
	;;#ASMEND
.LBB4_67:                               ;   in Loop: Header=BB4_36 Depth=1
	s_or_b32 exec_lo, exec_lo, s11
.LBB4_68:                               ;   in Loop: Header=BB4_36 Depth=1
	s_and_not1_saveexec_b32 s10, s10
	s_cbranch_execz .LBB4_70
; %bb.69:                               ;   in Loop: Header=BB4_36 Depth=1
	global_wb scope:SCOPE_DEV
	s_wait_storecnt 0x0
	s_wait_loadcnt_dscnt 0x0
	global_inv scope:SCOPE_DEV
	s_barrier_signal -1
	s_barrier_wait -1
.LBB4_70:                               ;   in Loop: Header=BB4_36 Depth=1
	s_or_b32 exec_lo, exec_lo, s10
.LBB4_71:                               ;   in Loop: Header=BB4_36 Depth=1
	s_delay_alu instid0(SALU_CYCLE_1) | instskip(SKIP_2) | instid1(VALU_DEP_2)
	s_or_b32 exec_lo, exec_lo, s9
	v_dual_sub_nc_u32 v1, v2, v30 :: v_dual_bitop2_b32 v40, 7, v16 bitop3:0x40
	v_dual_mov_b32 v18, v0 :: v_dual_add_nc_u32 v3, 1, v16
	v_cmp_lt_i32_e64 s9, 0, v1
	s_and_saveexec_b32 s10, s9
	s_cbranch_execz .LBB4_79
; %bb.72:                               ;   in Loop: Header=BB4_36 Depth=1
	s_wait_loadcnt_dscnt 0x0
	v_mad_nc_u64_u32 v[116:117], v98, v19, v[86:87]
	v_mul_lo_u32 v4, v40, s17
	v_dual_mov_b32 v41, v1 :: v_dual_ashrrev_i32 v18, 31, v19
	s_mov_b32 s11, 0
	s_delay_alu instid0(VALU_DEP_3) | instskip(NEXT) | instid1(VALU_DEP_3)
	v_mad_u32 v2, v99, v19, v117
	v_ashrrev_i32_e32 v5, 31, v4
	v_mad_u32 v19, v58, v19, v56
	s_delay_alu instid0(VALU_DEP_2) | instskip(NEXT) | instid1(VALU_DEP_4)
	v_lshl_add_u64 v[118:119], v[4:5], 4, v[114:115]
	v_mad_u32 v117, v98, v18, v2
	v_mov_b32_e32 v18, v0
	s_branch .LBB4_74
.LBB4_73:                               ;   in Loop: Header=BB4_74 Depth=2
	s_wait_xcnt 0x0
	s_or_b32 exec_lo, exec_lo, s12
	s_wait_loadcnt 0x0
	v_alignbit_b32 v2, v43, v2, v19
	v_alignbit_b32 v4, v42, v43, v19
	v_dual_mov_b32 v5, v3 :: v_dual_sub_nc_u32 v41, v41, v112
	v_add_nc_u64_e32 v[116:117], v[116:117], v[100:101]
	v_dual_add_nc_u32 v18, v18, v20 :: v_dual_add_nc_u32 v19, v19, v59
	global_store_b128 v[118:119], v[2:5], off
	v_cmp_gt_i32_e32 vcc_lo, 1, v41
	s_wait_xcnt 0x0
	v_add_nc_u64_e32 v[118:119], v[118:119], v[102:103]
	s_or_b32 s11, vcc_lo, s11
	s_delay_alu instid0(SALU_CYCLE_1)
	s_and_not1_b32 exec_lo, exec_lo, s11
	s_cbranch_execz .LBB4_78
.LBB4_74:                               ;   Parent Loop BB4_36 Depth=1
                                        ; =>  This Inner Loop Header: Depth=2
	s_delay_alu instid0(VALU_DEP_2)
	v_dual_mov_b32 v5, v117 :: v_dual_bitop2_b32 v4, -4, v116 bitop3:0x40
	v_min_u32_e32 v52, 4, v41
	v_dual_mov_b32 v43, 0 :: v_dual_bitop2_b32 v42, 3, v116 bitop3:0x40
	s_mov_b32 s12, exec_lo
	global_load_b32 v2, v[4:5], off th:TH_LOAD_NT
	v_lshl_add_u32 v52, v52, 1, v42
	v_mov_b32_e32 v42, 0
	s_wait_xcnt 0x0
	s_delay_alu instid0(VALU_DEP_2)
	v_cmpx_lt_u32_e32 4, v52
	s_cbranch_execz .LBB4_76
; %bb.75:                               ;   in Loop: Header=BB4_74 Depth=2
	global_load_b32 v43, v[4:5], off offset:4 th:TH_LOAD_NT
.LBB4_76:                               ;   in Loop: Header=BB4_74 Depth=2
	s_wait_xcnt 0x0
	s_or_b32 exec_lo, exec_lo, s12
	s_delay_alu instid0(SALU_CYCLE_1)
	s_mov_b32 s12, exec_lo
	v_cmpx_lt_u64_e32 8, v[52:53]
	s_cbranch_execz .LBB4_73
; %bb.77:                               ;   in Loop: Header=BB4_74 Depth=2
	global_load_b32 v42, v[4:5], off offset:8 th:TH_LOAD_NT
	s_branch .LBB4_73
.LBB4_78:                               ;   in Loop: Header=BB4_36 Depth=1
	s_or_b32 exec_lo, exec_lo, s11
.LBB4_79:                               ;   in Loop: Header=BB4_36 Depth=1
	s_delay_alu instid0(SALU_CYCLE_1) | instskip(SKIP_2) | instid1(VALU_DEP_2)
	s_or_b32 exec_lo, exec_lo, s10
	v_and_b32_e32 v52, 0x7ffffff8, v16
	v_cmp_gt_i32_e64 s10, s17, v18
	v_cmp_eq_u64_e32 vcc_lo, 0x7ffffff8, v[52:53]
	s_and_b32 s11, vcc_lo, s10
	s_delay_alu instid0(SALU_CYCLE_1)
	s_and_saveexec_b32 s10, s11
	s_cbranch_execz .LBB4_82
; %bb.80:                               ;   in Loop: Header=BB4_36 Depth=1
	v_mul_lo_u32 v4, v40, s17
	v_mov_b32_e32 v2, v53
	s_mov_b32 s11, 0
	s_wait_loadcnt_dscnt 0x0
	s_delay_alu instid0(VALU_DEP_2) | instskip(NEXT) | instid1(VALU_DEP_1)
	v_dual_ashrrev_i32 v19, 31, v18 :: v_dual_ashrrev_i32 v5, 31, v4
	v_lshlrev_b64_e32 v[4:5], 4, v[4:5]
	s_delay_alu instid0(VALU_DEP_1) | instskip(NEXT) | instid1(VALU_DEP_1)
	v_lshl_add_u64 v[4:5], v[18:19], 4, v[4:5]
	v_add_nc_u64_e32 v[116:117], v[36:37], v[4:5]
.LBB4_81:                               ;   Parent Loop BB4_36 Depth=1
                                        ; =>  This Inner Loop Header: Depth=2
	v_dual_mov_b32 v4, v2 :: v_dual_mov_b32 v5, v3
	v_add_nc_u32_e32 v18, v18, v20
	global_store_b128 v[116:117], v[2:5], off
	v_cmp_le_i32_e32 vcc_lo, s17, v18
	s_wait_xcnt 0x0
	v_add_nc_u64_e32 v[116:117], v[116:117], v[102:103]
	s_or_b32 s11, vcc_lo, s11
	s_delay_alu instid0(SALU_CYCLE_1)
	s_and_not1_b32 exec_lo, exec_lo, s11
	s_cbranch_execnz .LBB4_81
.LBB4_82:                               ;   in Loop: Header=BB4_36 Depth=1
	s_or_b32 exec_lo, exec_lo, s10
	v_add_nc_u64_e32 v[116:117], v[80:81], v[24:25]
	v_add_nc_u64_e32 v[118:119], 1, v[16:17]
	s_and_not1_b32 vcc_lo, exec_lo, s19
	s_cbranch_vccnz .LBB4_212
; %bb.83:                               ;   in Loop: Header=BB4_36 Depth=1
	s_delay_alu instid0(VALU_DEP_2)
	v_lshl_add_u64 v[40:41], v[116:117], 1, v[84:85]
	v_add_nc_u16 v62, v16, 1
	s_mov_b32 s20, 2
	s_branch .LBB4_85
.LBB4_84:                               ;   in Loop: Header=BB4_85 Depth=2
	s_or_b32 exec_lo, exec_lo, s10
	v_add_nc_u64_e32 v[34:35], 1, v[34:35]
	v_add_nc_u64_e32 v[118:119], 1, v[118:119]
	v_add_nc_u16 v62, v62, 1
	s_add_co_i32 s20, s20, 1
	s_delay_alu instid0(SALU_CYCLE_1)
	s_cmp_eq_u32 s20, s14
	s_cbranch_scc1 .LBB4_212
.LBB4_85:                               ;   Parent Loop BB4_36 Depth=1
                                        ; =>  This Loop Header: Depth=2
                                        ;       Child Loop BB4_90 Depth 3
                                        ;       Child Loop BB4_109 Depth 3
	;; [unrolled: 1-line block ×3, first 2 shown]
                                        ;         Child Loop BB4_139 Depth 4
                                        ;       Child Loop BB4_201 Depth 3
                                        ;       Child Loop BB4_126 Depth 3
	s_sub_co_i32 s11, s14, s20
	v_readfirstlane_b32 s10, v22
	v_mov_b32_e32 v2, s11
	v_readfirstlane_b32 s11, v23
	flat_load_b32 v4, v2, s[10:11] scale_offset
	s_wait_xcnt 0x0
	s_and_saveexec_b32 s11, s1
	s_cbranch_execz .LBB4_101
; %bb.86:                               ;   in Loop: Header=BB4_85 Depth=2
	v_add_nc_u64_e32 v[2:3], 1, v[14:15]
	s_wait_loadcnt_dscnt 0x101
	v_add_nc_u64_e32 v[16:17], 8, v[54:55]
	s_mov_b32 s12, exec_lo
	s_delay_alu instid0(VALU_DEP_1)
	v_cmpx_lt_u64_e64 v[16:17], v[2:3]
	s_cbranch_execz .LBB4_98
; %bb.87:                               ;   in Loop: Header=BB4_85 Depth=2
	s_mov_b32 s21, 0
	s_mov_b32 s25, 0
	v_cmp_eq_u32_e32 vcc_lo, 0, v61
                                        ; implicit-def: $sgpr22
                                        ; implicit-def: $sgpr23
                                        ; implicit-def: $sgpr24
	s_branch .LBB4_90
.LBB4_88:                               ;   in Loop: Header=BB4_90 Depth=3
	s_or_b32 exec_lo, exec_lo, s40
	s_delay_alu instid0(SALU_CYCLE_1)
	s_and_not1_b32 s10, s24, exec_lo
	s_and_b32 s24, s28, exec_lo
	s_and_not1_b32 s23, s23, exec_lo
	s_and_b32 s27, s27, exec_lo
	s_or_b32 s24, s10, s24
	s_or_b32 s23, s23, s27
.LBB4_89:                               ;   in Loop: Header=BB4_90 Depth=3
	s_or_b32 exec_lo, exec_lo, s26
	s_delay_alu instid0(SALU_CYCLE_1) | instskip(NEXT) | instid1(SALU_CYCLE_1)
	s_and_b32 s10, exec_lo, s23
	s_or_b32 s21, s10, s21
	s_and_not1_b32 s10, s22, exec_lo
	s_and_b32 s22, s24, exec_lo
	s_delay_alu instid0(SALU_CYCLE_1)
	s_or_b32 s22, s10, s22
	s_and_not1_b32 exec_lo, exec_lo, s21
	s_cbranch_execz .LBB4_95
.LBB4_90:                               ;   Parent Loop BB4_36 Depth=1
                                        ;     Parent Loop BB4_85 Depth=2
                                        ; =>    This Inner Loop Header: Depth=3
	s_sleep 1
	s_wait_loadcnt_dscnt 0x0
	flat_load_b64 v[54:55], v[48:49] scope:SCOPE_DEV
	v_mov_b32_e32 v61, 1
	s_or_b32 s24, s24, exec_lo
	s_or_b32 s23, s23, exec_lo
                                        ; implicit-def: $vgpr5
	s_wait_xcnt 0x0
	s_and_saveexec_b32 s26, vcc_lo
	s_cbranch_execz .LBB4_89
; %bb.91:                               ;   in Loop: Header=BB4_90 Depth=3
	s_add_co_i32 s25, s25, 1
	s_mov_b32 s27, -1
	s_cmp_lg_u32 s25, 0x2710
	s_mov_b32 s28, -1
	s_cselect_b32 s29, -1, 0
	s_cmp_eq_u32 s25, 0x2710
                                        ; implicit-def: $vgpr5
	s_cbranch_scc1 .LBB4_93
; %bb.92:                               ;   in Loop: Header=BB4_90 Depth=3
	v_mov_b32_e32 v61, 1
	s_and_saveexec_b32 s40, s29
	s_cbranch_execz .LBB4_88
	s_branch .LBB4_94
.LBB4_93:                               ;   in Loop: Header=BB4_90 Depth=3
	s_trap 2
	ds_load_b64 v[16:17], v0
	s_and_not1_b32 s25, s29, exec_lo
	s_mov_b32 s28, 0
	s_wait_storecnt 0x0
	s_wait_loadcnt_dscnt 0x0
	flat_load_b32 v5, v[16:17] scope:SCOPE_SYS
	s_wait_loadcnt_dscnt 0x0
	global_inv scope:SCOPE_SYS
	v_cmp_eq_u32_e64 s10, 0, v5
	s_and_b32 s10, s10, exec_lo
	s_delay_alu instid0(SALU_CYCLE_1)
	s_or_b32 s29, s25, s10
	s_mov_b32 s25, 0
	v_mov_b32_e32 v61, 1
	s_and_saveexec_b32 s40, s29
	s_cbranch_execz .LBB4_88
.LBB4_94:                               ;   in Loop: Header=BB4_90 Depth=3
	s_wait_loadcnt_dscnt 0x0
	v_add_nc_u64_e32 v[16:17], 8, v[54:55]
	v_mov_b32_e32 v61, 0
	s_or_b32 s28, s28, exec_lo
	s_delay_alu instid0(VALU_DEP_2)
	v_cmp_ge_u64_e64 s10, v[16:17], v[2:3]
	s_or_not1_b32 s27, s10, exec_lo
	s_branch .LBB4_88
.LBB4_95:                               ;   in Loop: Header=BB4_85 Depth=2
	s_or_b32 exec_lo, exec_lo, s21
	s_xor_b32 s10, s22, -1
	s_delay_alu instid0(SALU_CYCLE_1) | instskip(NEXT) | instid1(SALU_CYCLE_1)
	s_and_saveexec_b32 s21, s10
	s_xor_b32 s10, exec_lo, s21
	s_cbranch_execz .LBB4_97
; %bb.96:                               ;   in Loop: Header=BB4_85 Depth=2
	v_mov_b32_e32 v61, 1
	s_wait_storecnt 0x0
	s_wait_loadcnt_dscnt 0x0
	ds_store_b32 v0, v5
	s_trap 2
.LBB4_97:                               ;   in Loop: Header=BB4_85 Depth=2
	s_or_b32 exec_lo, exec_lo, s10
.LBB4_98:                               ;   in Loop: Header=BB4_85 Depth=2
	s_delay_alu instid0(SALU_CYCLE_1)
	s_or_b32 exec_lo, exec_lo, s12
	s_and_saveexec_b32 s10, s2
	s_cbranch_execz .LBB4_100
; %bb.99:                               ;   in Loop: Header=BB4_85 Depth=2
	v_and_b32_e32 v52, 0x7ffffff8, v14
	s_delay_alu instid0(VALU_DEP_1) | instskip(SKIP_1) | instid1(VALU_DEP_1)
	v_cmp_eq_u64_e32 vcc_lo, 0x7ffffff8, v[52:53]
	v_cndmask_b32_e64 v16, v21, s15, vcc_lo
	v_dual_ashrrev_i32 v17, 31, v16 :: v_dual_bitop2_b32 v5, 7, v14 bitop3:0x40
	s_delay_alu instid0(VALU_DEP_1)
	v_mad_nc_u64_u32 v[14:15], v5, 24, v[12:13]
	flat_store_b64 v[14:15], v[16:17] offset:8 scope:SCOPE_SYS
	s_wait_storecnt 0x0
.LBB4_100:                              ;   in Loop: Header=BB4_85 Depth=2
	s_wait_xcnt 0x0
	s_or_b32 exec_lo, exec_lo, s10
	v_mov_b64_e32 v[14:15], v[2:3]
.LBB4_101:                              ;   in Loop: Header=BB4_85 Depth=2
	s_or_b32 exec_lo, exec_lo, s11
	s_and_saveexec_b32 s10, s3
	s_cbranch_execz .LBB4_120
; %bb.102:                              ;   in Loop: Header=BB4_85 Depth=2
	s_and_saveexec_b32 s11, s4
	s_delay_alu instid0(SALU_CYCLE_1)
	s_xor_b32 s11, exec_lo, s11
	s_cbranch_execz .LBB4_117
; %bb.103:                              ;   in Loop: Header=BB4_85 Depth=2
	s_and_saveexec_b32 s12, s5
	s_cbranch_execz .LBB4_116
; %bb.104:                              ;   in Loop: Header=BB4_85 Depth=2
	s_mov_b32 s22, exec_lo
	s_mov_b32 s21, exec_lo
	v_mbcnt_lo_u32_b32 v2, s22, 0
	global_wb scope:SCOPE_DEV
	s_wait_storecnt 0x0
	s_wait_loadcnt_dscnt 0x0
	global_inv scope:SCOPE_DEV
	v_cmpx_eq_u32_e32 0, v2
	s_cbranch_execz .LBB4_106
; %bb.105:                              ;   in Loop: Header=BB4_85 Depth=2
	s_bcnt1_i32_b32 s22, s22
	s_delay_alu instid0(SALU_CYCLE_1)
	v_mov_b32_e32 v52, s22
	s_wait_loadcnt 0x0
	ds_add_u64 v0, v[52:53]
	s_trap 2
.LBB4_106:                              ;   in Loop: Header=BB4_85 Depth=2
	s_or_b32 exec_lo, exec_lo, s21
	s_trap 2
	ds_load_b64 v[2:3], v0
	s_wait_dscnt 0x0
	v_add_nc_u64_e32 v[64:65], v[64:65], v[82:83]
	s_mov_b32 s21, exec_lo
	s_delay_alu instid0(VALU_DEP_1)
	v_cmpx_lt_u64_e64 v[2:3], v[64:65]
	s_cbranch_execz .LBB4_115
; %bb.107:                              ;   in Loop: Header=BB4_85 Depth=2
	s_mov_b32 s22, 0
	s_mov_b32 s25, 0
                                        ; implicit-def: $sgpr23
                                        ; implicit-def: $sgpr24
	s_branch .LBB4_109
.LBB4_108:                              ;   in Loop: Header=BB4_109 Depth=3
	s_or_b32 exec_lo, exec_lo, s27
	s_delay_alu instid0(SALU_CYCLE_1) | instskip(NEXT) | instid1(SALU_CYCLE_1)
	s_and_b32 s26, exec_lo, s28
	s_or_b32 s22, s26, s22
	s_and_not1_b32 s23, s23, exec_lo
	s_and_b32 s26, s24, exec_lo
	s_delay_alu instid0(SALU_CYCLE_1)
	s_or_b32 s23, s23, s26
	s_and_not1_b32 exec_lo, exec_lo, s22
	s_cbranch_execz .LBB4_113
.LBB4_109:                              ;   Parent Loop BB4_36 Depth=1
                                        ;     Parent Loop BB4_85 Depth=2
                                        ; =>    This Inner Loop Header: Depth=3
	s_add_co_i32 s25, s25, 1
	s_delay_alu instid0(SALU_CYCLE_1) | instskip(SKIP_1) | instid1(SALU_CYCLE_1)
	s_cmp_lg_u32 s25, 0x2710
	s_cselect_b32 s26, -1, 0
	s_and_b32 vcc_lo, exec_lo, s26
	s_cbranch_vccz .LBB4_111
; %bb.110:                              ;   in Loop: Header=BB4_109 Depth=3
	s_mov_b32 s28, -1
	s_or_b32 s24, s24, exec_lo
	s_and_saveexec_b32 s27, s26
	s_cbranch_execz .LBB4_108
	s_branch .LBB4_112
.LBB4_111:                              ;   in Loop: Header=BB4_109 Depth=3
	s_trap 2
	ds_load_b64 v[2:3], v0
	s_and_not1_b32 s26, s26, exec_lo
	s_mov_b32 s25, 0
	s_wait_loadcnt_dscnt 0x0
	flat_load_b32 v2, v[2:3] scope:SCOPE_SYS
	s_wait_loadcnt_dscnt 0x0
	global_inv scope:SCOPE_SYS
	v_cmp_eq_u32_e32 vcc_lo, 0, v2
	s_and_b32 s27, vcc_lo, exec_lo
	s_delay_alu instid0(SALU_CYCLE_1)
	s_or_b32 s26, s26, s27
	s_mov_b32 s28, -1
	s_or_b32 s24, s24, exec_lo
	s_and_saveexec_b32 s27, s26
	s_cbranch_execz .LBB4_108
.LBB4_112:                              ;   in Loop: Header=BB4_109 Depth=3
	s_sleep 1
	s_trap 2
	ds_load_b64 v[2:3], v0
	s_wait_dscnt 0x0
	s_and_not1_b32 s24, s24, exec_lo
	v_cmp_ge_u64_e32 vcc_lo, v[2:3], v[64:65]
	s_or_not1_b32 s28, vcc_lo, exec_lo
	s_branch .LBB4_108
.LBB4_113:                              ;   in Loop: Header=BB4_85 Depth=2
	s_or_b32 exec_lo, exec_lo, s22
	s_and_saveexec_b32 s22, s23
	s_delay_alu instid0(SALU_CYCLE_1)
	s_xor_b32 s22, exec_lo, s22
	s_cbranch_execz .LBB4_115
; %bb.114:                              ;   in Loop: Header=BB4_85 Depth=2
	ds_store_b32 v0, v60
	s_trap 2
.LBB4_115:                              ;   in Loop: Header=BB4_85 Depth=2
	s_or_b32 exec_lo, exec_lo, s21
	;;#ASMSTART
	s_wakeup
	;;#ASMEND
.LBB4_116:                              ;   in Loop: Header=BB4_85 Depth=2
	s_or_b32 exec_lo, exec_lo, s12
.LBB4_117:                              ;   in Loop: Header=BB4_85 Depth=2
	s_and_not1_saveexec_b32 s11, s11
	s_cbranch_execz .LBB4_119
; %bb.118:                              ;   in Loop: Header=BB4_85 Depth=2
	global_wb scope:SCOPE_DEV
	s_wait_storecnt 0x0
	s_wait_loadcnt_dscnt 0x0
	global_inv scope:SCOPE_DEV
	s_barrier_signal -1
	s_barrier_wait -1
.LBB4_119:                              ;   in Loop: Header=BB4_85 Depth=2
	s_or_b32 exec_lo, exec_lo, s11
.LBB4_120:                              ;   in Loop: Header=BB4_85 Depth=2
	s_delay_alu instid0(SALU_CYCLE_1)
	s_or_b32 exec_lo, exec_lo, s10
	v_dual_mov_b32 v52, v0 :: v_dual_add_nc_u32 v3, 1, v118
	s_and_saveexec_b32 s21, s9
	s_cbranch_execnz .LBB4_127
; %bb.121:                              ;   in Loop: Header=BB4_85 Depth=2
	s_or_b32 exec_lo, exec_lo, s21
	s_and_saveexec_b32 s10, s3
	s_cbranch_execnz .LBB4_194
.LBB4_122:                              ;   in Loop: Header=BB4_85 Depth=2
	s_or_b32 exec_lo, exec_lo, s10
	s_and_saveexec_b32 s10, s7
	s_cbranch_execz .LBB4_124
.LBB4_123:                              ;   in Loop: Header=BB4_85 Depth=2
	v_add_nc_u64_e32 v[38:39], 1, v[38:39]
	global_wb scope:SCOPE_SYS
	s_wait_storecnt 0x0
	s_wait_loadcnt_dscnt 0x0
	flat_store_b64 v[50:51], v[38:39] scope:SCOPE_SYS
.LBB4_124:                              ;   in Loop: Header=BB4_85 Depth=2
	s_wait_xcnt 0x0
	s_or_b32 exec_lo, exec_lo, s10
	s_wait_loadcnt_dscnt 0x0
	v_and_b32_e32 v4, 0x7ffffff8, v118
	v_mov_b32_e32 v5, v53
	v_cmp_gt_i32_e64 s10, s17, v52
	s_delay_alu instid0(VALU_DEP_2) | instskip(SKIP_1) | instid1(SALU_CYCLE_1)
	v_cmp_eq_u64_e32 vcc_lo, 0x7ffffff8, v[4:5]
	s_and_b32 s11, vcc_lo, s10
	s_and_saveexec_b32 s10, s11
	s_cbranch_execz .LBB4_84
; %bb.125:                              ;   in Loop: Header=BB4_85 Depth=2
	v_dual_ashrrev_i32 v17, 31, v52 :: v_dual_bitop2_b32 v2, 7, v62 bitop3:0x40
	v_mov_b32_e32 v16, v52
	s_mov_b32 s11, 0
	s_delay_alu instid0(VALU_DEP_2) | instskip(NEXT) | instid1(VALU_DEP_1)
	v_mul_lo_u32 v4, s17, v2
	v_dual_mov_b32 v2, v53 :: v_dual_ashrrev_i32 v5, 31, v4
	s_delay_alu instid0(VALU_DEP_1) | instskip(NEXT) | instid1(VALU_DEP_1)
	v_lshlrev_b64_e32 v[4:5], 4, v[4:5]
	v_lshl_add_u64 v[4:5], v[16:17], 4, v[4:5]
	s_delay_alu instid0(VALU_DEP_1)
	v_add_nc_u64_e32 v[16:17], v[36:37], v[4:5]
.LBB4_126:                              ;   Parent Loop BB4_36 Depth=1
                                        ;     Parent Loop BB4_85 Depth=2
                                        ; =>    This Inner Loop Header: Depth=3
	s_delay_alu instid0(VALU_DEP_4) | instskip(SKIP_1) | instid1(VALU_DEP_2)
	v_dual_mov_b32 v4, v2 :: v_dual_add_nc_u32 v52, v52, v20
	v_mov_b32_e32 v5, v3
	v_cmp_le_i32_e32 vcc_lo, s17, v52
	global_store_b128 v[16:17], v[2:5], off
	s_wait_xcnt 0x0
	v_add_nc_u64_e32 v[16:17], v[16:17], v[102:103]
	s_or_b32 s11, vcc_lo, s11
	s_delay_alu instid0(SALU_CYCLE_1)
	s_and_not1_b32 exec_lo, exec_lo, s11
	s_cbranch_execnz .LBB4_126
	s_branch .LBB4_84
.LBB4_127:                              ;   in Loop: Header=BB4_85 Depth=2
	s_wait_loadcnt_dscnt 0x0
	v_dual_ashrrev_i32 v5, 31, v4 :: v_dual_bitop2_b32 v2, 7, v34 bitop3:0x40
	s_mov_b32 s22, 0
	v_dual_mov_b32 v63, v1 :: v_dual_mov_b32 v52, v0
	s_delay_alu instid0(VALU_DEP_2) | instskip(SKIP_3) | instid1(VALU_DEP_3)
	v_mul_u64_e32 v[16:17], v[68:69], v[4:5]
	v_and_b32_e32 v5, 7, v118
	v_mul_lo_u32 v4, v2, s17
	v_add_nc_u32_e32 v2, 1, v34
	v_mul_lo_u32 v18, v5, s17
	s_delay_alu instid0(VALU_DEP_1) | instskip(NEXT) | instid1(VALU_DEP_1)
	v_dual_ashrrev_i32 v5, 31, v4 :: v_dual_ashrrev_i32 v19, 31, v18
	v_lshl_add_u64 v[4:5], v[4:5], 4, v[32:33]
	s_delay_alu instid0(VALU_DEP_2)
	v_lshl_add_u64 v[42:43], v[18:19], 4, v[36:37]
	v_lshl_add_u64 v[44:45], v[16:17], 1, v[40:41]
	s_branch .LBB4_131
.LBB4_128:                              ;   in Loop: Header=BB4_131 Depth=3
	s_or_b32 exec_lo, exec_lo, s23
	s_delay_alu instid0(VALU_DEP_1)
	v_mov_b32_e32 v18, v47
.LBB4_129:                              ;   in Loop: Header=BB4_131 Depth=3
	s_or_b32 exec_lo, exec_lo, s24
.LBB4_130:                              ;   in Loop: Header=BB4_131 Depth=3
	s_delay_alu instid0(SALU_CYCLE_1) | instskip(SKIP_1) | instid1(VALU_DEP_2)
	s_or_b32 exec_lo, exec_lo, s12
	v_dual_mov_b32 v47, v53 :: v_dual_lshlrev_b32 v46, 1, v112
	v_dual_lshlrev_b32 v16, 16, v16 :: v_dual_lshlrev_b32 v18, 16, v18
	v_and_b32_e32 v72, 0xffff, v17
	v_and_b32_e32 v19, 0xffff, v19
	v_or3_b32 v17, 0, 0, v3
	v_sub_nc_u32_e32 v63, v63, v112
	v_add_nc_u64_e32 v[44:45], v[44:45], v[46:47]
	v_lshl_add_u64 v[46:47], v[52:53], 4, v[42:43]
	v_or3_b32 v18, v18, v19, 0
	v_mov_b32_e32 v19, v17
	v_cmp_gt_i32_e32 vcc_lo, 1, v63
	v_or3_b32 v16, v16, v72, 0
	v_add_nc_u32_e32 v52, v52, v20
	s_or_b32 s22, vcc_lo, s22
	global_store_b128 v[46:47], v[16:19], off
	s_wait_xcnt 0x0
	s_and_not1_b32 exec_lo, exec_lo, s22
	s_cbranch_execz .LBB4_193
.LBB4_131:                              ;   Parent Loop BB4_36 Depth=1
                                        ;     Parent Loop BB4_85 Depth=2
                                        ; =>    This Loop Header: Depth=3
                                        ;         Child Loop BB4_139 Depth 4
	s_delay_alu instid0(VALU_DEP_1)
	v_dual_mov_b32 v17, v45 :: v_dual_bitop2_b32 v16, -4, v44 bitop3:0x40
	v_min_u32_e32 v18, 4, v63
	v_dual_mov_b32 v72, 0 :: v_dual_bitop2_b32 v19, 3, v44 bitop3:0x40
	v_mov_b32_e32 v73, 0
	global_load_b32 v74, v[16:17], off th:TH_LOAD_NT
	s_mov_b32 s10, exec_lo
	v_lshl_add_u32 v18, v18, 1, v19
	s_wait_xcnt 0x0
	s_delay_alu instid0(VALU_DEP_1)
	v_cmpx_lt_u32_e32 4, v18
	s_cbranch_execz .LBB4_133
; %bb.132:                              ;   in Loop: Header=BB4_131 Depth=3
	global_load_b32 v73, v[16:17], off offset:4 th:TH_LOAD_NT
.LBB4_133:                              ;   in Loop: Header=BB4_131 Depth=3
	s_wait_xcnt 0x0
	s_or_b32 exec_lo, exec_lo, s10
	v_mov_b32_e32 v19, v53
	s_mov_b32 s10, exec_lo
	s_delay_alu instid0(VALU_DEP_1)
	v_cmpx_lt_u64_e32 8, v[18:19]
	s_cbranch_execz .LBB4_135
; %bb.134:                              ;   in Loop: Header=BB4_131 Depth=3
	global_load_b32 v72, v[16:17], off offset:8 th:TH_LOAD_NT
.LBB4_135:                              ;   in Loop: Header=BB4_131 Depth=3
	s_wait_xcnt 0x0
	s_or_b32 exec_lo, exec_lo, s10
	v_lshl_add_u64 v[46:47], v[52:53], 4, v[4:5]
	v_cmp_eq_u32_e32 vcc_lo, 0, v61
	v_mov_b32_e32 v61, 1
	global_load_b128 v[16:19], v[46:47], off th:TH_LOAD_NT
	s_wait_xcnt 0x0
	s_and_saveexec_b32 s11, vcc_lo
	s_cbranch_execz .LBB4_147
; %bb.136:                              ;   in Loop: Header=BB4_131 Depth=3
	s_wait_loadcnt 0x0
	v_cmp_ne_u32_e32 vcc_lo, v2, v17
	v_cmp_ne_u32_e64 s10, v2, v19
	v_mov_b32_e32 v61, 0
	s_or_b32 s10, vcc_lo, s10
	s_delay_alu instid0(SALU_CYCLE_1)
	s_and_saveexec_b32 s12, s10
	s_cbranch_execz .LBB4_146
; %bb.137:                              ;   in Loop: Header=BB4_131 Depth=3
	s_mov_b32 s26, 1
	s_mov_b32 s24, 0
                                        ; implicit-def: $sgpr23
                                        ; implicit-def: $sgpr25
	s_branch .LBB4_139
.LBB4_138:                              ;   in Loop: Header=BB4_139 Depth=4
	s_or_b32 exec_lo, exec_lo, s28
	s_delay_alu instid0(SALU_CYCLE_1) | instskip(NEXT) | instid1(SALU_CYCLE_1)
	s_and_b32 s10, exec_lo, s10
	s_or_b32 s24, s10, s24
	s_and_not1_b32 s10, s23, exec_lo
	s_and_b32 s23, s25, exec_lo
	s_delay_alu instid0(SALU_CYCLE_1)
	s_or_b32 s23, s10, s23
	s_and_not1_b32 exec_lo, exec_lo, s24
	s_cbranch_execz .LBB4_143
.LBB4_139:                              ;   Parent Loop BB4_36 Depth=1
                                        ;     Parent Loop BB4_85 Depth=2
                                        ;       Parent Loop BB4_131 Depth=3
                                        ; =>      This Inner Loop Header: Depth=4
	s_wait_loadcnt 0x0
	global_load_b128 v[16:19], v[46:47], off th:TH_LOAD_NT
	s_add_co_i32 s26, s26, 1
	s_mov_b32 s10, -1
	s_cmp_lg_u32 s26, 0x2710
	s_mov_b32 s27, -1
                                        ; implicit-def: $vgpr75
	s_cbranch_scc0 .LBB4_141
; %bb.140:                              ;   in Loop: Header=BB4_139 Depth=4
	s_or_b32 s25, s25, exec_lo
	s_wait_xcnt 0x0
	s_and_saveexec_b32 s28, s27
	s_cbranch_execz .LBB4_138
	s_branch .LBB4_142
.LBB4_141:                              ;   in Loop: Header=BB4_139 Depth=4
	s_trap 2
	ds_load_b64 v[76:77], v0
	s_mov_b32 s26, 0
	s_wait_storecnt 0x0
	s_wait_loadcnt_dscnt 0x0
	flat_load_b32 v75, v[76:77] scope:SCOPE_SYS
	s_wait_loadcnt_dscnt 0x0
	global_inv scope:SCOPE_SYS
	v_cmp_eq_u32_e32 vcc_lo, 0, v75
	s_or_not1_b32 s27, vcc_lo, exec_lo
	s_or_b32 s25, s25, exec_lo
	s_wait_xcnt 0x0
	s_and_saveexec_b32 s28, s27
	s_cbranch_execz .LBB4_138
.LBB4_142:                              ;   in Loop: Header=BB4_139 Depth=4
	s_wait_loadcnt 0x0
	v_cmp_eq_u32_e32 vcc_lo, v2, v17
	v_cmp_eq_u32_e64 s10, v2, v19
	s_and_not1_b32 s25, s25, exec_lo
	s_and_b32 s10, vcc_lo, s10
	s_delay_alu instid0(SALU_CYCLE_1)
	s_or_not1_b32 s10, s10, exec_lo
	s_branch .LBB4_138
.LBB4_143:                              ;   in Loop: Header=BB4_131 Depth=3
	s_or_b32 exec_lo, exec_lo, s24
	v_mov_b32_e32 v61, 0
	s_and_saveexec_b32 s10, s23
	s_delay_alu instid0(SALU_CYCLE_1)
	s_xor_b32 s10, exec_lo, s10
	s_cbranch_execz .LBB4_145
; %bb.144:                              ;   in Loop: Header=BB4_131 Depth=3
	v_mov_b32_e32 v61, 1
	s_wait_loadcnt 0x0
	s_wait_storecnt 0x0
	ds_store_b32 v0, v75
	s_trap 2
.LBB4_145:                              ;   in Loop: Header=BB4_131 Depth=3
	s_or_b32 exec_lo, exec_lo, s10
.LBB4_146:                              ;   in Loop: Header=BB4_131 Depth=3
	s_delay_alu instid0(SALU_CYCLE_1)
	s_or_b32 exec_lo, exec_lo, s12
.LBB4_147:                              ;   in Loop: Header=BB4_131 Depth=3
	s_delay_alu instid0(SALU_CYCLE_1) | instskip(SKIP_3) | instid1(VALU_DEP_2)
	s_or_b32 exec_lo, exec_lo, s11
	s_wait_loadcnt 0x0
	v_lshlrev_b32_e32 v19, 3, v44
	v_and_b32_e32 v17, 0x7fff, v16
	v_alignbit_b32 v46, v73, v74, v19
	s_delay_alu instid0(VALU_DEP_2) | instskip(NEXT) | instid1(VALU_DEP_2)
	v_cmp_lt_u16_e32 vcc_lo, 0x7c00, v17
                                        ; implicit-def: $vgpr17
	v_and_b32_e32 v47, 0x7fff, v46
	s_delay_alu instid0(VALU_DEP_1) | instskip(SKIP_1) | instid1(SALU_CYCLE_1)
	v_cmp_gt_u16_e64 s10, 0x7c01, v47
	s_and_b32 s11, vcc_lo, s10
	s_xor_b32 s23, s11, -1
	s_and_saveexec_b32 s11, s6
	s_delay_alu instid0(SALU_CYCLE_1)
	s_xor_b32 s24, exec_lo, s11
	s_cbranch_execz .LBB4_153
; %bb.148:                              ;   in Loop: Header=BB4_131 Depth=3
	v_mov_b32_e32 v17, v46
	s_and_saveexec_b32 s25, s23
	s_cbranch_execz .LBB4_152
; %bb.149:                              ;   in Loop: Header=BB4_131 Depth=3
	v_mov_b32_e32 v17, v16
	s_or_b32 s11, vcc_lo, s10
	s_delay_alu instid0(SALU_CYCLE_1)
	s_and_saveexec_b32 s26, s11
; %bb.150:                              ;   in Loop: Header=BB4_131 Depth=3
	v_cmp_gt_f16_e64 s12, v16, v46
	v_cmp_lt_u16_e64 s11, 0x7c00, v47
	s_delay_alu instid0(VALU_DEP_2)
	v_cndmask_b32_e64 v17, v46, v16, s12
	s_and_b32 s11, vcc_lo, s11
	s_delay_alu instid0(VALU_DEP_1) | instid1(SALU_CYCLE_1)
	v_cndmask_b32_e64 v17, v17, 0x7fff, s11
; %bb.151:                              ;   in Loop: Header=BB4_131 Depth=3
	s_or_b32 exec_lo, exec_lo, s26
.LBB4_152:                              ;   in Loop: Header=BB4_131 Depth=3
	s_delay_alu instid0(SALU_CYCLE_1)
	s_or_b32 exec_lo, exec_lo, s25
                                        ; implicit-def: $vgpr47
.LBB4_153:                              ;   in Loop: Header=BB4_131 Depth=3
	s_and_not1_saveexec_b32 s12, s24
	s_cbranch_execz .LBB4_159
; %bb.154:                              ;   in Loop: Header=BB4_131 Depth=3
	v_mov_b32_e32 v17, v46
	s_and_saveexec_b32 s24, s23
	s_cbranch_execz .LBB4_158
; %bb.155:                              ;   in Loop: Header=BB4_131 Depth=3
	v_mov_b32_e32 v17, v16
	s_or_b32 s10, vcc_lo, s10
	s_delay_alu instid0(SALU_CYCLE_1)
	s_and_saveexec_b32 s23, s10
; %bb.156:                              ;   in Loop: Header=BB4_131 Depth=3
	v_cmp_gt_f16_e64 s11, v16, v46
	v_cmp_lt_u16_e64 s10, 0x7c00, v47
	s_delay_alu instid0(VALU_DEP_2)
	v_cndmask_b32_e64 v17, v16, v46, s11
	s_and_b32 s10, vcc_lo, s10
	s_delay_alu instid0(VALU_DEP_1) | instid1(SALU_CYCLE_1)
	v_cndmask_b32_e64 v17, v17, 0x7fff, s10
; %bb.157:                              ;   in Loop: Header=BB4_131 Depth=3
	s_or_b32 exec_lo, exec_lo, s23
.LBB4_158:                              ;   in Loop: Header=BB4_131 Depth=3
	s_delay_alu instid0(SALU_CYCLE_1)
	s_or_b32 exec_lo, exec_lo, s24
.LBB4_159:                              ;   in Loop: Header=BB4_131 Depth=3
	s_delay_alu instid0(SALU_CYCLE_1) | instskip(SKIP_1) | instid1(VALU_DEP_1)
	s_or_b32 exec_lo, exec_lo, s12
	v_dual_lshrrev_b32 v47, 16, v16 :: v_dual_lshrrev_b32 v16, 16, v46
	v_and_b32_e32 v74, 0x7fff, v47
	s_delay_alu instid0(VALU_DEP_2) | instskip(NEXT) | instid1(VALU_DEP_2)
	v_and_b32_e32 v46, 0x7fff, v16
	v_cmp_lt_u16_e32 vcc_lo, 0x7c00, v74
	s_delay_alu instid0(VALU_DEP_2) | instskip(SKIP_1) | instid1(SALU_CYCLE_1)
	v_cmp_gt_u16_e64 s10, 0x7c01, v46
	s_and_b32 s11, vcc_lo, s10
	s_xor_b32 s23, s11, -1
	s_and_saveexec_b32 s11, s6
	s_delay_alu instid0(SALU_CYCLE_1)
	s_xor_b32 s24, exec_lo, s11
	s_cbranch_execz .LBB4_165
; %bb.160:                              ;   in Loop: Header=BB4_131 Depth=3
	s_and_saveexec_b32 s25, s23
	s_cbranch_execz .LBB4_164
; %bb.161:                              ;   in Loop: Header=BB4_131 Depth=3
	s_or_b32 s11, vcc_lo, s10
	s_delay_alu instid0(SALU_CYCLE_1)
	s_and_saveexec_b32 s26, s11
; %bb.162:                              ;   in Loop: Header=BB4_131 Depth=3
	v_cmp_gt_f16_e64 s12, v47, v16
	v_cmp_lt_u16_e64 s11, 0x7c00, v46
	s_delay_alu instid0(VALU_DEP_2)
	v_cndmask_b32_e64 v16, v16, v47, s12
	s_and_b32 s11, vcc_lo, s11
	s_delay_alu instid0(VALU_DEP_1) | instid1(SALU_CYCLE_1)
	v_cndmask_b32_e64 v47, v16, 0x7fff, s11
; %bb.163:                              ;   in Loop: Header=BB4_131 Depth=3
	s_or_b32 exec_lo, exec_lo, s26
	s_delay_alu instid0(VALU_DEP_1)
	v_mov_b32_e32 v16, v47
.LBB4_164:                              ;   in Loop: Header=BB4_131 Depth=3
	s_or_b32 exec_lo, exec_lo, s25
                                        ; implicit-def: $vgpr47
                                        ; implicit-def: $vgpr46
.LBB4_165:                              ;   in Loop: Header=BB4_131 Depth=3
	s_and_not1_saveexec_b32 s12, s24
	s_cbranch_execz .LBB4_171
; %bb.166:                              ;   in Loop: Header=BB4_131 Depth=3
	s_and_saveexec_b32 s24, s23
	s_cbranch_execz .LBB4_170
; %bb.167:                              ;   in Loop: Header=BB4_131 Depth=3
	s_or_b32 s10, vcc_lo, s10
	s_delay_alu instid0(SALU_CYCLE_1)
	s_and_saveexec_b32 s23, s10
; %bb.168:                              ;   in Loop: Header=BB4_131 Depth=3
	v_cmp_gt_f16_e64 s11, v47, v16
	v_cmp_lt_u16_e64 s10, 0x7c00, v46
	s_delay_alu instid0(VALU_DEP_2)
	v_cndmask_b32_e64 v16, v47, v16, s11
	s_and_b32 s10, vcc_lo, s10
	s_delay_alu instid0(VALU_DEP_1) | instid1(SALU_CYCLE_1)
	v_cndmask_b32_e64 v47, v16, 0x7fff, s10
; %bb.169:                              ;   in Loop: Header=BB4_131 Depth=3
	s_or_b32 exec_lo, exec_lo, s23
	s_delay_alu instid0(VALU_DEP_1)
	v_mov_b32_e32 v16, v47
.LBB4_170:                              ;   in Loop: Header=BB4_131 Depth=3
	s_or_b32 exec_lo, exec_lo, s24
.LBB4_171:                              ;   in Loop: Header=BB4_131 Depth=3
	s_delay_alu instid0(SALU_CYCLE_1) | instskip(SKIP_2) | instid1(VALU_DEP_2)
	s_or_b32 exec_lo, exec_lo, s12
	v_alignbit_b32 v46, v72, v73, v19
	v_and_b32_e32 v19, 0x7fff, v18
	v_and_b32_e32 v47, 0x7fff, v46
	s_delay_alu instid0(VALU_DEP_2) | instskip(NEXT) | instid1(VALU_DEP_2)
	v_cmp_lt_u16_e32 vcc_lo, 0x7c00, v19
                                        ; implicit-def: $vgpr19
	v_cmp_gt_u16_e64 s10, 0x7c01, v47
	s_and_b32 s11, vcc_lo, s10
	s_delay_alu instid0(SALU_CYCLE_1) | instskip(SKIP_1) | instid1(SALU_CYCLE_1)
	s_xor_b32 s23, s11, -1
	s_and_saveexec_b32 s11, s6
	s_xor_b32 s24, exec_lo, s11
	s_cbranch_execz .LBB4_177
; %bb.172:                              ;   in Loop: Header=BB4_131 Depth=3
	v_mov_b32_e32 v19, v46
	s_and_saveexec_b32 s25, s23
	s_cbranch_execz .LBB4_176
; %bb.173:                              ;   in Loop: Header=BB4_131 Depth=3
	v_mov_b32_e32 v19, v18
	s_or_b32 s11, vcc_lo, s10
	s_delay_alu instid0(SALU_CYCLE_1)
	s_and_saveexec_b32 s26, s11
; %bb.174:                              ;   in Loop: Header=BB4_131 Depth=3
	v_cmp_gt_f16_e64 s12, v18, v46
	v_cmp_lt_u16_e64 s11, 0x7c00, v47
	s_delay_alu instid0(VALU_DEP_2)
	v_cndmask_b32_e64 v19, v46, v18, s12
	s_and_b32 s11, vcc_lo, s11
	s_delay_alu instid0(VALU_DEP_1) | instid1(SALU_CYCLE_1)
	v_cndmask_b32_e64 v19, v19, 0x7fff, s11
; %bb.175:                              ;   in Loop: Header=BB4_131 Depth=3
	s_or_b32 exec_lo, exec_lo, s26
.LBB4_176:                              ;   in Loop: Header=BB4_131 Depth=3
	s_delay_alu instid0(SALU_CYCLE_1)
	s_or_b32 exec_lo, exec_lo, s25
                                        ; implicit-def: $vgpr47
.LBB4_177:                              ;   in Loop: Header=BB4_131 Depth=3
	s_and_not1_saveexec_b32 s12, s24
	s_cbranch_execz .LBB4_183
; %bb.178:                              ;   in Loop: Header=BB4_131 Depth=3
	v_mov_b32_e32 v19, v46
	s_and_saveexec_b32 s24, s23
	s_cbranch_execz .LBB4_182
; %bb.179:                              ;   in Loop: Header=BB4_131 Depth=3
	v_mov_b32_e32 v19, v18
	s_or_b32 s10, vcc_lo, s10
	s_delay_alu instid0(SALU_CYCLE_1)
	s_and_saveexec_b32 s23, s10
; %bb.180:                              ;   in Loop: Header=BB4_131 Depth=3
	v_cmp_gt_f16_e64 s11, v18, v46
	v_cmp_lt_u16_e64 s10, 0x7c00, v47
	s_delay_alu instid0(VALU_DEP_2)
	v_cndmask_b32_e64 v19, v18, v46, s11
	s_and_b32 s10, vcc_lo, s10
	s_delay_alu instid0(VALU_DEP_1) | instid1(SALU_CYCLE_1)
	v_cndmask_b32_e64 v19, v19, 0x7fff, s10
; %bb.181:                              ;   in Loop: Header=BB4_131 Depth=3
	s_or_b32 exec_lo, exec_lo, s23
.LBB4_182:                              ;   in Loop: Header=BB4_131 Depth=3
	s_delay_alu instid0(SALU_CYCLE_1)
	s_or_b32 exec_lo, exec_lo, s24
.LBB4_183:                              ;   in Loop: Header=BB4_131 Depth=3
	s_delay_alu instid0(SALU_CYCLE_1) | instskip(SKIP_2) | instid1(VALU_DEP_2)
	s_or_b32 exec_lo, exec_lo, s12
	v_lshrrev_b32_e32 v47, 16, v18
	v_lshrrev_b32_e32 v18, 16, v46
	v_and_b32_e32 v72, 0x7fff, v47
	s_delay_alu instid0(VALU_DEP_2) | instskip(NEXT) | instid1(VALU_DEP_2)
	v_and_b32_e32 v46, 0x7fff, v18
	v_cmp_lt_u16_e32 vcc_lo, 0x7c00, v72
	s_delay_alu instid0(VALU_DEP_2) | instskip(SKIP_1) | instid1(SALU_CYCLE_1)
	v_cmp_gt_u16_e64 s10, 0x7c01, v46
	s_and_b32 s11, vcc_lo, s10
	s_xor_b32 s23, s11, -1
	s_and_saveexec_b32 s11, s6
	s_delay_alu instid0(SALU_CYCLE_1)
	s_xor_b32 s24, exec_lo, s11
	s_cbranch_execz .LBB4_189
; %bb.184:                              ;   in Loop: Header=BB4_131 Depth=3
	s_and_saveexec_b32 s25, s23
	s_cbranch_execz .LBB4_188
; %bb.185:                              ;   in Loop: Header=BB4_131 Depth=3
	s_or_b32 s11, vcc_lo, s10
	s_delay_alu instid0(SALU_CYCLE_1)
	s_and_saveexec_b32 s26, s11
; %bb.186:                              ;   in Loop: Header=BB4_131 Depth=3
	v_cmp_gt_f16_e64 s12, v47, v18
	v_cmp_lt_u16_e64 s11, 0x7c00, v46
	s_delay_alu instid0(VALU_DEP_2)
	v_cndmask_b32_e64 v18, v18, v47, s12
	s_and_b32 s11, vcc_lo, s11
	s_delay_alu instid0(VALU_DEP_1) | instid1(SALU_CYCLE_1)
	v_cndmask_b32_e64 v47, v18, 0x7fff, s11
; %bb.187:                              ;   in Loop: Header=BB4_131 Depth=3
	s_or_b32 exec_lo, exec_lo, s26
	s_delay_alu instid0(VALU_DEP_1)
	v_mov_b32_e32 v18, v47
.LBB4_188:                              ;   in Loop: Header=BB4_131 Depth=3
	s_or_b32 exec_lo, exec_lo, s25
                                        ; implicit-def: $vgpr47
                                        ; implicit-def: $vgpr46
.LBB4_189:                              ;   in Loop: Header=BB4_131 Depth=3
	s_and_not1_saveexec_b32 s12, s24
	s_cbranch_execz .LBB4_130
; %bb.190:                              ;   in Loop: Header=BB4_131 Depth=3
	s_and_saveexec_b32 s24, s23
	s_cbranch_execz .LBB4_129
; %bb.191:                              ;   in Loop: Header=BB4_131 Depth=3
	s_or_b32 s10, vcc_lo, s10
	s_delay_alu instid0(SALU_CYCLE_1)
	s_and_saveexec_b32 s23, s10
	s_cbranch_execz .LBB4_128
; %bb.192:                              ;   in Loop: Header=BB4_131 Depth=3
	v_cmp_gt_f16_e64 s11, v47, v18
	v_cmp_lt_u16_e64 s10, 0x7c00, v46
	s_delay_alu instid0(VALU_DEP_2)
	v_cndmask_b32_e64 v18, v47, v18, s11
	s_and_b32 s10, vcc_lo, s10
	s_delay_alu instid0(VALU_DEP_1) | instid1(SALU_CYCLE_1)
	v_cndmask_b32_e64 v47, v18, 0x7fff, s10
	s_branch .LBB4_128
.LBB4_193:                              ;   in Loop: Header=BB4_85 Depth=2
	s_or_b32 exec_lo, exec_lo, s22
	s_delay_alu instid0(SALU_CYCLE_1)
	s_or_b32 exec_lo, exec_lo, s21
	s_and_saveexec_b32 s10, s3
	s_cbranch_execz .LBB4_122
.LBB4_194:                              ;   in Loop: Header=BB4_85 Depth=2
	s_and_saveexec_b32 s11, s4
	s_delay_alu instid0(SALU_CYCLE_1)
	s_xor_b32 s11, exec_lo, s11
	s_cbranch_execz .LBB4_209
; %bb.195:                              ;   in Loop: Header=BB4_85 Depth=2
	s_and_saveexec_b32 s12, s5
	s_cbranch_execz .LBB4_208
; %bb.196:                              ;   in Loop: Header=BB4_85 Depth=2
	s_mov_b32 s22, exec_lo
	s_mov_b32 s21, exec_lo
	v_mbcnt_lo_u32_b32 v2, s22, 0
	global_wb scope:SCOPE_DEV
	s_wait_storecnt 0x0
	s_wait_loadcnt_dscnt 0x0
	global_inv scope:SCOPE_DEV
	v_cmpx_eq_u32_e32 0, v2
	s_cbranch_execz .LBB4_198
; %bb.197:                              ;   in Loop: Header=BB4_85 Depth=2
	s_bcnt1_i32_b32 s22, s22
	s_delay_alu instid0(SALU_CYCLE_1)
	v_dual_mov_b32 v5, v53 :: v_dual_mov_b32 v4, s22
	s_wait_loadcnt 0x0
	ds_add_u64 v0, v[4:5]
	s_trap 2
.LBB4_198:                              ;   in Loop: Header=BB4_85 Depth=2
	s_or_b32 exec_lo, exec_lo, s21
	s_trap 2
	ds_load_b64 v[4:5], v0
	s_wait_dscnt 0x0
	v_add_nc_u64_e32 v[64:65], v[64:65], v[82:83]
	s_mov_b32 s21, exec_lo
	s_delay_alu instid0(VALU_DEP_1)
	v_cmpx_lt_u64_e64 v[4:5], v[64:65]
	s_cbranch_execz .LBB4_207
; %bb.199:                              ;   in Loop: Header=BB4_85 Depth=2
	s_mov_b32 s22, 0
	s_mov_b32 s25, 0
                                        ; implicit-def: $sgpr23
                                        ; implicit-def: $sgpr24
	s_branch .LBB4_201
.LBB4_200:                              ;   in Loop: Header=BB4_201 Depth=3
	s_or_b32 exec_lo, exec_lo, s27
	s_delay_alu instid0(SALU_CYCLE_1) | instskip(NEXT) | instid1(SALU_CYCLE_1)
	s_and_b32 s26, exec_lo, s28
	s_or_b32 s22, s26, s22
	s_and_not1_b32 s23, s23, exec_lo
	s_and_b32 s26, s24, exec_lo
	s_delay_alu instid0(SALU_CYCLE_1)
	s_or_b32 s23, s23, s26
	s_and_not1_b32 exec_lo, exec_lo, s22
	s_cbranch_execz .LBB4_205
.LBB4_201:                              ;   Parent Loop BB4_36 Depth=1
                                        ;     Parent Loop BB4_85 Depth=2
                                        ; =>    This Inner Loop Header: Depth=3
	s_add_co_i32 s25, s25, 1
	s_delay_alu instid0(SALU_CYCLE_1) | instskip(SKIP_1) | instid1(SALU_CYCLE_1)
	s_cmp_lg_u32 s25, 0x2710
	s_cselect_b32 s26, -1, 0
	s_and_b32 vcc_lo, exec_lo, s26
	s_cbranch_vccz .LBB4_203
; %bb.202:                              ;   in Loop: Header=BB4_201 Depth=3
	s_mov_b32 s28, -1
	s_or_b32 s24, s24, exec_lo
	s_and_saveexec_b32 s27, s26
	s_cbranch_execz .LBB4_200
	s_branch .LBB4_204
.LBB4_203:                              ;   in Loop: Header=BB4_201 Depth=3
	s_trap 2
	ds_load_b64 v[4:5], v0
	s_and_not1_b32 s26, s26, exec_lo
	s_mov_b32 s25, 0
	s_wait_loadcnt_dscnt 0x0
	flat_load_b32 v2, v[4:5] scope:SCOPE_SYS
	s_wait_loadcnt_dscnt 0x0
	global_inv scope:SCOPE_SYS
	v_cmp_eq_u32_e32 vcc_lo, 0, v2
	s_and_b32 s27, vcc_lo, exec_lo
	s_delay_alu instid0(SALU_CYCLE_1)
	s_or_b32 s26, s26, s27
	s_mov_b32 s28, -1
	s_or_b32 s24, s24, exec_lo
	s_and_saveexec_b32 s27, s26
	s_cbranch_execz .LBB4_200
.LBB4_204:                              ;   in Loop: Header=BB4_201 Depth=3
	s_sleep 1
	s_trap 2
	ds_load_b64 v[4:5], v0
	s_wait_dscnt 0x0
	s_and_not1_b32 s24, s24, exec_lo
	v_cmp_ge_u64_e32 vcc_lo, v[4:5], v[64:65]
	s_or_not1_b32 s28, vcc_lo, exec_lo
	s_branch .LBB4_200
.LBB4_205:                              ;   in Loop: Header=BB4_85 Depth=2
	s_or_b32 exec_lo, exec_lo, s22
	s_and_saveexec_b32 s22, s23
	s_delay_alu instid0(SALU_CYCLE_1)
	s_xor_b32 s22, exec_lo, s22
	s_cbranch_execz .LBB4_207
; %bb.206:                              ;   in Loop: Header=BB4_85 Depth=2
	ds_store_b32 v0, v60
	s_trap 2
.LBB4_207:                              ;   in Loop: Header=BB4_85 Depth=2
	s_or_b32 exec_lo, exec_lo, s21
	;;#ASMSTART
	s_wakeup
	;;#ASMEND
.LBB4_208:                              ;   in Loop: Header=BB4_85 Depth=2
	s_or_b32 exec_lo, exec_lo, s12
.LBB4_209:                              ;   in Loop: Header=BB4_85 Depth=2
	s_and_not1_saveexec_b32 s11, s11
	s_cbranch_execz .LBB4_211
; %bb.210:                              ;   in Loop: Header=BB4_85 Depth=2
	global_wb scope:SCOPE_DEV
	s_wait_storecnt 0x0
	s_wait_loadcnt_dscnt 0x0
	global_inv scope:SCOPE_DEV
	s_barrier_signal -1
	s_barrier_wait -1
.LBB4_211:                              ;   in Loop: Header=BB4_85 Depth=2
	s_or_b32 exec_lo, exec_lo, s11
	s_delay_alu instid0(SALU_CYCLE_1)
	s_or_b32 exec_lo, exec_lo, s10
	s_and_saveexec_b32 s10, s7
	s_cbranch_execnz .LBB4_123
	s_branch .LBB4_124
.LBB4_212:                              ;   in Loop: Header=BB4_36 Depth=1
	s_delay_alu instid0(VALU_DEP_1)
	v_mov_b64_e32 v[16:17], v[118:119]
	s_and_saveexec_b32 s12, s9
	s_cbranch_execnz .LBB4_215
; %bb.213:                              ;   in Loop: Header=BB4_36 Depth=1
	s_or_b32 exec_lo, exec_lo, s12
	s_and_saveexec_b32 s9, s3
	s_cbranch_execnz .LBB4_292
.LBB4_214:                              ;   in Loop: Header=BB4_36 Depth=1
	s_or_b32 exec_lo, exec_lo, s9
	s_and_saveexec_b32 s9, s7
	s_cbranch_execz .LBB4_35
	s_branch .LBB4_310
.LBB4_215:                              ;   in Loop: Header=BB4_36 Depth=1
	flat_load_b32 v2, v[22:23]
	v_dual_add_nc_u32 v21, 1, v34 :: v_dual_bitop2_b32 v18, 7, v34 bitop3:0x40
	v_lshlrev_b64_e32 v[4:5], 1, v[116:117]
	v_lshlrev_b32_e32 v52, 1, v30
	s_mov_b32 s20, 0
	s_delay_alu instid0(VALU_DEP_3) | instskip(SKIP_2) | instid1(VALU_DEP_4)
	v_mul_lo_u32 v118, v18, s17
	v_mov_b32_e32 v40, v0
	s_wait_loadcnt_dscnt 0x101
	v_add_nc_u64_e32 v[18:19], v[10:11], v[4:5]
	s_delay_alu instid0(VALU_DEP_3) | instskip(NEXT) | instid1(VALU_DEP_1)
	v_ashrrev_i32_e32 v119, 31, v118
	v_lshl_add_u64 v[118:119], v[118:119], 4, v[32:33]
	s_wait_loadcnt_dscnt 0x0
	v_ashrrev_i32_e32 v3, 31, v2
	s_delay_alu instid0(VALU_DEP_1) | instskip(NEXT) | instid1(VALU_DEP_1)
	v_mul_u64_e32 v[2:3], v[68:69], v[2:3]
	v_lshl_add_u64 v[2:3], v[2:3], 1, v[18:19]
	v_add_nc_u64_e32 v[18:19], v[8:9], v[4:5]
	s_delay_alu instid0(VALU_DEP_2)
	v_add_nc_u64_e32 v[116:117], v[2:3], v[52:53]
	s_branch .LBB4_217
.LBB4_216:                              ;   in Loop: Header=BB4_217 Depth=2
	v_dual_lshlrev_b32 v52, 1, v112 :: v_dual_sub_nc_u32 v1, v1, v112
	v_add_nc_u32_e32 v40, v40, v20
	s_delay_alu instid0(VALU_DEP_2) | instskip(NEXT) | instid1(VALU_DEP_3)
	v_add_nc_u64_e32 v[116:117], v[116:117], v[52:53]
	v_cmp_gt_i32_e32 vcc_lo, 1, v1
	s_wait_xcnt 0x0
	v_add_nc_u64_e32 v[18:19], v[18:19], v[52:53]
	s_or_b32 s20, vcc_lo, s20
	s_delay_alu instid0(SALU_CYCLE_1)
	s_and_not1_b32 exec_lo, exec_lo, s20
	s_cbranch_execz .LBB4_291
.LBB4_217:                              ;   Parent Loop BB4_36 Depth=1
                                        ; =>  This Loop Header: Depth=2
                                        ;       Child Loop BB4_225 Depth 3
	s_delay_alu instid0(VALU_DEP_1)
	v_dual_mov_b32 v3, v117 :: v_dual_bitop2_b32 v2, -4, v116 bitop3:0x40
	v_min_u32_e32 v4, 4, v1
	v_dual_mov_b32 v44, 0 :: v_dual_bitop2_b32 v5, 3, v116 bitop3:0x40
	v_mov_b32_e32 v45, 0
	global_load_b32 v46, v[2:3], off th:TH_LOAD_NT
	s_mov_b32 s9, exec_lo
	v_lshl_add_u32 v52, v4, 1, v5
	s_wait_xcnt 0x0
	s_delay_alu instid0(VALU_DEP_1)
	v_cmpx_lt_u32_e32 4, v52
	s_cbranch_execz .LBB4_219
; %bb.218:                              ;   in Loop: Header=BB4_217 Depth=2
	global_load_b32 v45, v[2:3], off offset:4 th:TH_LOAD_NT
.LBB4_219:                              ;   in Loop: Header=BB4_217 Depth=2
	s_wait_xcnt 0x0
	s_or_b32 exec_lo, exec_lo, s9
	s_delay_alu instid0(SALU_CYCLE_1)
	s_mov_b32 s9, exec_lo
	v_cmpx_lt_u64_e32 8, v[52:53]
	s_cbranch_execz .LBB4_221
; %bb.220:                              ;   in Loop: Header=BB4_217 Depth=2
	global_load_b32 v44, v[2:3], off offset:8 th:TH_LOAD_NT
.LBB4_221:                              ;   in Loop: Header=BB4_217 Depth=2
	s_wait_xcnt 0x0
	s_or_b32 exec_lo, exec_lo, s9
	v_mov_b32_e32 v41, v53
	v_cmp_eq_u32_e32 vcc_lo, 0, v61
	v_mov_b32_e32 v61, 1
	s_delay_alu instid0(VALU_DEP_3)
	v_lshl_add_u64 v[42:43], v[40:41], 4, v[118:119]
	global_load_b128 v[2:5], v[42:43], off th:TH_LOAD_NT
	s_wait_xcnt 0x0
	s_and_saveexec_b32 s10, vcc_lo
	s_cbranch_execz .LBB4_233
; %bb.222:                              ;   in Loop: Header=BB4_217 Depth=2
	s_wait_loadcnt 0x0
	v_cmp_ne_u32_e32 vcc_lo, v21, v3
	v_cmp_ne_u32_e64 s9, v21, v5
	v_mov_b32_e32 v61, 0
	s_or_b32 s9, vcc_lo, s9
	s_delay_alu instid0(SALU_CYCLE_1)
	s_and_saveexec_b32 s11, s9
	s_cbranch_execz .LBB4_232
; %bb.223:                              ;   in Loop: Header=BB4_217 Depth=2
	s_mov_b32 s24, 1
	s_mov_b32 s22, 0
                                        ; implicit-def: $sgpr21
                                        ; implicit-def: $sgpr23
	s_branch .LBB4_225
.LBB4_224:                              ;   in Loop: Header=BB4_225 Depth=3
	s_or_b32 exec_lo, exec_lo, s26
	s_delay_alu instid0(SALU_CYCLE_1) | instskip(NEXT) | instid1(SALU_CYCLE_1)
	s_and_b32 s9, exec_lo, s9
	s_or_b32 s22, s9, s22
	s_and_not1_b32 s9, s21, exec_lo
	s_and_b32 s21, s23, exec_lo
	s_delay_alu instid0(SALU_CYCLE_1)
	s_or_b32 s21, s9, s21
	s_and_not1_b32 exec_lo, exec_lo, s22
	s_cbranch_execz .LBB4_229
.LBB4_225:                              ;   Parent Loop BB4_36 Depth=1
                                        ;     Parent Loop BB4_217 Depth=2
                                        ; =>    This Inner Loop Header: Depth=3
	s_wait_loadcnt 0x0
	global_load_b128 v[2:5], v[42:43], off th:TH_LOAD_NT
	s_add_co_i32 s24, s24, 1
	s_mov_b32 s9, -1
	s_cmp_lg_u32 s24, 0x2710
	s_mov_b32 s25, -1
                                        ; implicit-def: $vgpr52
	s_cbranch_scc0 .LBB4_227
; %bb.226:                              ;   in Loop: Header=BB4_225 Depth=3
	s_or_b32 s23, s23, exec_lo
	s_wait_xcnt 0x0
	s_and_saveexec_b32 s26, s25
	s_cbranch_execz .LBB4_224
	s_branch .LBB4_228
.LBB4_227:                              ;   in Loop: Header=BB4_225 Depth=3
	s_trap 2
	ds_load_b64 v[62:63], v0
	s_mov_b32 s24, 0
	s_wait_storecnt 0x0
	s_wait_loadcnt_dscnt 0x0
	flat_load_b32 v52, v[62:63] scope:SCOPE_SYS
	s_wait_loadcnt_dscnt 0x0
	global_inv scope:SCOPE_SYS
	v_cmp_eq_u32_e32 vcc_lo, 0, v52
	s_or_not1_b32 s25, vcc_lo, exec_lo
	s_or_b32 s23, s23, exec_lo
	s_wait_xcnt 0x0
	s_and_saveexec_b32 s26, s25
	s_cbranch_execz .LBB4_224
.LBB4_228:                              ;   in Loop: Header=BB4_225 Depth=3
	s_wait_loadcnt 0x0
	v_cmp_eq_u32_e32 vcc_lo, v21, v3
	v_cmp_eq_u32_e64 s9, v21, v5
	s_and_not1_b32 s23, s23, exec_lo
	s_and_b32 s9, vcc_lo, s9
	s_delay_alu instid0(SALU_CYCLE_1)
	s_or_not1_b32 s9, s9, exec_lo
	s_branch .LBB4_224
.LBB4_229:                              ;   in Loop: Header=BB4_217 Depth=2
	s_or_b32 exec_lo, exec_lo, s22
	v_mov_b32_e32 v61, 0
	s_and_saveexec_b32 s9, s21
	s_delay_alu instid0(SALU_CYCLE_1)
	s_xor_b32 s9, exec_lo, s9
	s_cbranch_execz .LBB4_231
; %bb.230:                              ;   in Loop: Header=BB4_217 Depth=2
	v_mov_b32_e32 v61, 1
	s_wait_loadcnt 0x0
	s_wait_storecnt 0x0
	ds_store_b32 v0, v52
	s_trap 2
.LBB4_231:                              ;   in Loop: Header=BB4_217 Depth=2
	s_or_b32 exec_lo, exec_lo, s9
.LBB4_232:                              ;   in Loop: Header=BB4_217 Depth=2
	s_delay_alu instid0(SALU_CYCLE_1)
	s_or_b32 exec_lo, exec_lo, s11
.LBB4_233:                              ;   in Loop: Header=BB4_217 Depth=2
	s_delay_alu instid0(SALU_CYCLE_1) | instskip(SKIP_3) | instid1(VALU_DEP_2)
	s_or_b32 exec_lo, exec_lo, s10
	s_wait_loadcnt 0x0
	v_lshlrev_b32_e32 v5, 3, v116
	v_and_b32_e32 v3, 0x7fff, v2
	v_alignbit_b32 v52, v45, v46, v5
	s_delay_alu instid0(VALU_DEP_2) | instskip(NEXT) | instid1(VALU_DEP_2)
	v_cmp_lt_u16_e32 vcc_lo, 0x7c00, v3
                                        ; implicit-def: $vgpr3
	v_and_b32_e32 v41, 0x7fff, v52
	s_delay_alu instid0(VALU_DEP_1) | instskip(SKIP_1) | instid1(SALU_CYCLE_1)
	v_cmp_gt_u16_e64 s9, 0x7c01, v41
	s_and_b32 s10, vcc_lo, s9
	s_xor_b32 s21, s10, -1
	s_and_saveexec_b32 s10, s6
	s_delay_alu instid0(SALU_CYCLE_1)
	s_xor_b32 s22, exec_lo, s10
	s_cbranch_execz .LBB4_239
; %bb.234:                              ;   in Loop: Header=BB4_217 Depth=2
	v_mov_b32_e32 v3, v52
	s_and_saveexec_b32 s23, s21
	s_cbranch_execz .LBB4_238
; %bb.235:                              ;   in Loop: Header=BB4_217 Depth=2
	v_mov_b32_e32 v3, v2
	s_or_b32 s10, vcc_lo, s9
	s_delay_alu instid0(SALU_CYCLE_1)
	s_and_saveexec_b32 s24, s10
; %bb.236:                              ;   in Loop: Header=BB4_217 Depth=2
	v_cmp_gt_f16_e64 s11, v2, v52
	v_cmp_lt_u16_e64 s10, 0x7c00, v41
	s_delay_alu instid0(VALU_DEP_2)
	v_cndmask_b32_e64 v3, v52, v2, s11
	s_and_b32 s10, vcc_lo, s10
	s_delay_alu instid0(VALU_DEP_1) | instid1(SALU_CYCLE_1)
	v_cndmask_b32_e64 v3, v3, 0x7fff, s10
; %bb.237:                              ;   in Loop: Header=BB4_217 Depth=2
	s_or_b32 exec_lo, exec_lo, s24
.LBB4_238:                              ;   in Loop: Header=BB4_217 Depth=2
	s_delay_alu instid0(SALU_CYCLE_1)
	s_or_b32 exec_lo, exec_lo, s23
                                        ; implicit-def: $vgpr41
.LBB4_239:                              ;   in Loop: Header=BB4_217 Depth=2
	s_and_not1_saveexec_b32 s11, s22
	s_cbranch_execz .LBB4_245
; %bb.240:                              ;   in Loop: Header=BB4_217 Depth=2
	v_mov_b32_e32 v3, v52
	s_and_saveexec_b32 s22, s21
	s_cbranch_execz .LBB4_244
; %bb.241:                              ;   in Loop: Header=BB4_217 Depth=2
	v_mov_b32_e32 v3, v2
	s_or_b32 s9, vcc_lo, s9
	s_delay_alu instid0(SALU_CYCLE_1)
	s_and_saveexec_b32 s21, s9
; %bb.242:                              ;   in Loop: Header=BB4_217 Depth=2
	v_cmp_gt_f16_e64 s10, v2, v52
	v_cmp_lt_u16_e64 s9, 0x7c00, v41
	s_delay_alu instid0(VALU_DEP_2)
	v_cndmask_b32_e64 v3, v2, v52, s10
	s_and_b32 s9, vcc_lo, s9
	s_delay_alu instid0(VALU_DEP_1) | instid1(SALU_CYCLE_1)
	v_cndmask_b32_e64 v3, v3, 0x7fff, s9
; %bb.243:                              ;   in Loop: Header=BB4_217 Depth=2
	s_or_b32 exec_lo, exec_lo, s21
.LBB4_244:                              ;   in Loop: Header=BB4_217 Depth=2
	s_delay_alu instid0(SALU_CYCLE_1)
	s_or_b32 exec_lo, exec_lo, s22
.LBB4_245:                              ;   in Loop: Header=BB4_217 Depth=2
	s_delay_alu instid0(SALU_CYCLE_1) | instskip(SKIP_1) | instid1(VALU_DEP_1)
	s_or_b32 exec_lo, exec_lo, s11
	v_dual_lshrrev_b32 v41, 16, v2 :: v_dual_lshrrev_b32 v2, 16, v52
	v_and_b32_e32 v42, 0x7fff, v41
	s_delay_alu instid0(VALU_DEP_2) | instskip(NEXT) | instid1(VALU_DEP_2)
	v_and_b32_e32 v52, 0x7fff, v2
	v_cmp_lt_u16_e32 vcc_lo, 0x7c00, v42
	s_delay_alu instid0(VALU_DEP_2) | instskip(SKIP_1) | instid1(SALU_CYCLE_1)
	v_cmp_gt_u16_e64 s9, 0x7c01, v52
	s_and_b32 s10, vcc_lo, s9
	s_xor_b32 s21, s10, -1
	s_and_saveexec_b32 s10, s6
	s_delay_alu instid0(SALU_CYCLE_1)
	s_xor_b32 s22, exec_lo, s10
	s_cbranch_execz .LBB4_251
; %bb.246:                              ;   in Loop: Header=BB4_217 Depth=2
	s_and_saveexec_b32 s23, s21
	s_cbranch_execz .LBB4_250
; %bb.247:                              ;   in Loop: Header=BB4_217 Depth=2
	s_or_b32 s10, vcc_lo, s9
	s_delay_alu instid0(SALU_CYCLE_1)
	s_and_saveexec_b32 s24, s10
; %bb.248:                              ;   in Loop: Header=BB4_217 Depth=2
	v_cmp_gt_f16_e64 s11, v41, v2
	v_cmp_lt_u16_e64 s10, 0x7c00, v52
	s_delay_alu instid0(VALU_DEP_2)
	v_cndmask_b32_e64 v2, v2, v41, s11
	s_and_b32 s10, vcc_lo, s10
	s_delay_alu instid0(VALU_DEP_1) | instid1(SALU_CYCLE_1)
	v_cndmask_b32_e64 v41, v2, 0x7fff, s10
; %bb.249:                              ;   in Loop: Header=BB4_217 Depth=2
	s_or_b32 exec_lo, exec_lo, s24
	s_delay_alu instid0(VALU_DEP_1)
	v_mov_b32_e32 v2, v41
.LBB4_250:                              ;   in Loop: Header=BB4_217 Depth=2
	s_or_b32 exec_lo, exec_lo, s23
                                        ; implicit-def: $vgpr41
                                        ; implicit-def: $vgpr52
.LBB4_251:                              ;   in Loop: Header=BB4_217 Depth=2
	s_and_not1_saveexec_b32 s11, s22
	s_cbranch_execz .LBB4_257
; %bb.252:                              ;   in Loop: Header=BB4_217 Depth=2
	s_and_saveexec_b32 s22, s21
	s_cbranch_execz .LBB4_256
; %bb.253:                              ;   in Loop: Header=BB4_217 Depth=2
	s_or_b32 s9, vcc_lo, s9
	s_delay_alu instid0(SALU_CYCLE_1)
	s_and_saveexec_b32 s21, s9
; %bb.254:                              ;   in Loop: Header=BB4_217 Depth=2
	v_cmp_gt_f16_e64 s10, v41, v2
	v_cmp_lt_u16_e64 s9, 0x7c00, v52
	s_delay_alu instid0(VALU_DEP_2)
	v_cndmask_b32_e64 v2, v41, v2, s10
	s_and_b32 s9, vcc_lo, s9
	s_delay_alu instid0(VALU_DEP_1) | instid1(SALU_CYCLE_1)
	v_cndmask_b32_e64 v41, v2, 0x7fff, s9
; %bb.255:                              ;   in Loop: Header=BB4_217 Depth=2
	s_or_b32 exec_lo, exec_lo, s21
	s_delay_alu instid0(VALU_DEP_1)
	v_mov_b32_e32 v2, v41
.LBB4_256:                              ;   in Loop: Header=BB4_217 Depth=2
	s_or_b32 exec_lo, exec_lo, s22
.LBB4_257:                              ;   in Loop: Header=BB4_217 Depth=2
	s_delay_alu instid0(SALU_CYCLE_1) | instskip(SKIP_2) | instid1(VALU_DEP_2)
	s_or_b32 exec_lo, exec_lo, s11
	v_alignbit_b32 v52, v44, v45, v5
	v_and_b32_e32 v5, 0x7fff, v4
	v_and_b32_e32 v41, 0x7fff, v52
	s_delay_alu instid0(VALU_DEP_2) | instskip(NEXT) | instid1(VALU_DEP_2)
	v_cmp_lt_u16_e32 vcc_lo, 0x7c00, v5
                                        ; implicit-def: $vgpr5
	v_cmp_gt_u16_e64 s9, 0x7c01, v41
	s_and_b32 s10, vcc_lo, s9
	s_delay_alu instid0(SALU_CYCLE_1) | instskip(SKIP_1) | instid1(SALU_CYCLE_1)
	s_xor_b32 s21, s10, -1
	s_and_saveexec_b32 s10, s6
	s_xor_b32 s22, exec_lo, s10
	s_cbranch_execz .LBB4_263
; %bb.258:                              ;   in Loop: Header=BB4_217 Depth=2
	v_mov_b32_e32 v5, v52
	s_and_saveexec_b32 s23, s21
	s_cbranch_execz .LBB4_262
; %bb.259:                              ;   in Loop: Header=BB4_217 Depth=2
	v_mov_b32_e32 v5, v4
	s_or_b32 s10, vcc_lo, s9
	s_delay_alu instid0(SALU_CYCLE_1)
	s_and_saveexec_b32 s24, s10
; %bb.260:                              ;   in Loop: Header=BB4_217 Depth=2
	v_cmp_gt_f16_e64 s11, v4, v52
	v_cmp_lt_u16_e64 s10, 0x7c00, v41
	s_delay_alu instid0(VALU_DEP_2)
	v_cndmask_b32_e64 v5, v52, v4, s11
	s_and_b32 s10, vcc_lo, s10
	s_delay_alu instid0(VALU_DEP_1) | instid1(SALU_CYCLE_1)
	v_cndmask_b32_e64 v5, v5, 0x7fff, s10
; %bb.261:                              ;   in Loop: Header=BB4_217 Depth=2
	s_or_b32 exec_lo, exec_lo, s24
.LBB4_262:                              ;   in Loop: Header=BB4_217 Depth=2
	s_delay_alu instid0(SALU_CYCLE_1)
	s_or_b32 exec_lo, exec_lo, s23
                                        ; implicit-def: $vgpr41
.LBB4_263:                              ;   in Loop: Header=BB4_217 Depth=2
	s_and_not1_saveexec_b32 s11, s22
	s_cbranch_execz .LBB4_269
; %bb.264:                              ;   in Loop: Header=BB4_217 Depth=2
	v_mov_b32_e32 v5, v52
	s_and_saveexec_b32 s22, s21
	s_cbranch_execz .LBB4_268
; %bb.265:                              ;   in Loop: Header=BB4_217 Depth=2
	v_mov_b32_e32 v5, v4
	s_or_b32 s9, vcc_lo, s9
	s_delay_alu instid0(SALU_CYCLE_1)
	s_and_saveexec_b32 s21, s9
; %bb.266:                              ;   in Loop: Header=BB4_217 Depth=2
	v_cmp_gt_f16_e64 s10, v4, v52
	v_cmp_lt_u16_e64 s9, 0x7c00, v41
	s_delay_alu instid0(VALU_DEP_2)
	v_cndmask_b32_e64 v5, v4, v52, s10
	s_and_b32 s9, vcc_lo, s9
	s_delay_alu instid0(VALU_DEP_1) | instid1(SALU_CYCLE_1)
	v_cndmask_b32_e64 v5, v5, 0x7fff, s9
; %bb.267:                              ;   in Loop: Header=BB4_217 Depth=2
	s_or_b32 exec_lo, exec_lo, s21
.LBB4_268:                              ;   in Loop: Header=BB4_217 Depth=2
	s_delay_alu instid0(SALU_CYCLE_1)
	s_or_b32 exec_lo, exec_lo, s22
.LBB4_269:                              ;   in Loop: Header=BB4_217 Depth=2
	s_delay_alu instid0(SALU_CYCLE_1) | instskip(SKIP_2) | instid1(VALU_DEP_2)
	s_or_b32 exec_lo, exec_lo, s11
	v_lshrrev_b32_e32 v41, 16, v4
	v_lshrrev_b32_e32 v4, 16, v52
	v_and_b32_e32 v42, 0x7fff, v41
	s_delay_alu instid0(VALU_DEP_2) | instskip(NEXT) | instid1(VALU_DEP_2)
	v_and_b32_e32 v52, 0x7fff, v4
	v_cmp_lt_u16_e32 vcc_lo, 0x7c00, v42
	s_delay_alu instid0(VALU_DEP_2) | instskip(SKIP_1) | instid1(SALU_CYCLE_1)
	v_cmp_gt_u16_e64 s9, 0x7c01, v52
	s_and_b32 s10, vcc_lo, s9
	s_xor_b32 s21, s10, -1
	s_and_saveexec_b32 s10, s6
	s_delay_alu instid0(SALU_CYCLE_1)
	s_xor_b32 s22, exec_lo, s10
	s_cbranch_execz .LBB4_275
; %bb.270:                              ;   in Loop: Header=BB4_217 Depth=2
	s_and_saveexec_b32 s23, s21
	s_cbranch_execz .LBB4_274
; %bb.271:                              ;   in Loop: Header=BB4_217 Depth=2
	s_or_b32 s10, vcc_lo, s9
	s_delay_alu instid0(SALU_CYCLE_1)
	s_and_saveexec_b32 s24, s10
; %bb.272:                              ;   in Loop: Header=BB4_217 Depth=2
	v_cmp_gt_f16_e64 s11, v41, v4
	v_cmp_lt_u16_e64 s10, 0x7c00, v52
	s_delay_alu instid0(VALU_DEP_2)
	v_cndmask_b32_e64 v4, v4, v41, s11
	s_and_b32 s10, vcc_lo, s10
	s_delay_alu instid0(VALU_DEP_1) | instid1(SALU_CYCLE_1)
	v_cndmask_b32_e64 v41, v4, 0x7fff, s10
; %bb.273:                              ;   in Loop: Header=BB4_217 Depth=2
	s_or_b32 exec_lo, exec_lo, s24
	s_delay_alu instid0(VALU_DEP_1)
	v_mov_b32_e32 v4, v41
.LBB4_274:                              ;   in Loop: Header=BB4_217 Depth=2
	s_or_b32 exec_lo, exec_lo, s23
                                        ; implicit-def: $vgpr41
                                        ; implicit-def: $vgpr52
.LBB4_275:                              ;   in Loop: Header=BB4_217 Depth=2
	s_and_not1_saveexec_b32 s11, s22
	s_cbranch_execz .LBB4_281
; %bb.276:                              ;   in Loop: Header=BB4_217 Depth=2
	s_and_saveexec_b32 s22, s21
	s_cbranch_execz .LBB4_280
; %bb.277:                              ;   in Loop: Header=BB4_217 Depth=2
	s_or_b32 s9, vcc_lo, s9
	s_delay_alu instid0(SALU_CYCLE_1)
	s_and_saveexec_b32 s21, s9
; %bb.278:                              ;   in Loop: Header=BB4_217 Depth=2
	v_cmp_gt_f16_e64 s10, v41, v4
	v_cmp_lt_u16_e64 s9, 0x7c00, v52
	s_delay_alu instid0(VALU_DEP_2)
	v_cndmask_b32_e64 v4, v41, v4, s10
	s_and_b32 s9, vcc_lo, s9
	s_delay_alu instid0(VALU_DEP_1) | instid1(SALU_CYCLE_1)
	v_cndmask_b32_e64 v41, v4, 0x7fff, s9
; %bb.279:                              ;   in Loop: Header=BB4_217 Depth=2
	s_or_b32 exec_lo, exec_lo, s21
	s_delay_alu instid0(VALU_DEP_1)
	v_mov_b32_e32 v4, v41
.LBB4_280:                              ;   in Loop: Header=BB4_217 Depth=2
	s_or_b32 exec_lo, exec_lo, s22
.LBB4_281:                              ;   in Loop: Header=BB4_217 Depth=2
	s_delay_alu instid0(SALU_CYCLE_1) | instskip(SKIP_2) | instid1(SALU_CYCLE_1)
	s_or_b32 exec_lo, exec_lo, s11
	v_cmp_lt_u32_e32 vcc_lo, 3, v1
	s_and_b32 s9, s8, vcc_lo
	v_cndmask_b32_e64 v52, 0, 1, s9
	s_delay_alu instid0(VALU_DEP_1)
	v_cmp_ne_u32_e64 s9, 0, v52
	s_cmp_lg_u32 s9, exec_lo
	s_mov_b32 s9, -1
	s_cbranch_scc0 .LBB4_289
; %bb.282:                              ;   in Loop: Header=BB4_217 Depth=2
	s_mov_b32 s10, exec_lo
	flat_store_b16 v[18:19], v3
	s_wait_xcnt 0x0
	v_cmpx_ne_u32_e32 1, v1
	s_cbranch_execz .LBB4_284
; %bb.283:                              ;   in Loop: Header=BB4_217 Depth=2
	flat_store_b16 v[18:19], v2 offset:2
.LBB4_284:                              ;   in Loop: Header=BB4_217 Depth=2
	s_wait_xcnt 0x0
	s_or_b32 exec_lo, exec_lo, s10
	s_delay_alu instid0(SALU_CYCLE_1)
	s_mov_b32 s10, exec_lo
	v_cmpx_lt_u32_e32 2, v1
	s_cbranch_execz .LBB4_286
; %bb.285:                              ;   in Loop: Header=BB4_217 Depth=2
	flat_store_b16 v[18:19], v5 offset:4
.LBB4_286:                              ;   in Loop: Header=BB4_217 Depth=2
	s_wait_xcnt 0x0
	s_or_b32 exec_lo, exec_lo, s10
	s_and_saveexec_b32 s9, vcc_lo
	s_cbranch_execz .LBB4_288
; %bb.287:                              ;   in Loop: Header=BB4_217 Depth=2
	flat_store_b16 v[18:19], v4 offset:6
.LBB4_288:                              ;   in Loop: Header=BB4_217 Depth=2
	s_wait_xcnt 0x0
	s_or_b32 exec_lo, exec_lo, s9
	s_mov_b32 s9, 0
.LBB4_289:                              ;   in Loop: Header=BB4_217 Depth=2
	s_delay_alu instid0(SALU_CYCLE_1)
	s_and_b32 vcc_lo, exec_lo, s9
	s_cbranch_vccz .LBB4_216
; %bb.290:                              ;   in Loop: Header=BB4_217 Depth=2
	v_dual_lshlrev_b32 v2, 16, v2 :: v_dual_lshlrev_b32 v4, 16, v4
	v_and_b32_e32 v3, 0xffff, v3
	v_and_b32_e32 v5, 0xffff, v5
	s_delay_alu instid0(VALU_DEP_2) | instskip(NEXT) | instid1(VALU_DEP_2)
	v_or_b32_e32 v2, v2, v3
	v_or3_b32 v3, v4, v5, 0
	s_delay_alu instid0(VALU_DEP_2)
	v_or3_b32 v2, 0, 0, v2
	global_store_b64 v[18:19], v[2:3], off
	s_branch .LBB4_216
.LBB4_291:                              ;   in Loop: Header=BB4_36 Depth=1
	s_or_b32 exec_lo, exec_lo, s20
	s_delay_alu instid0(SALU_CYCLE_1)
	s_or_b32 exec_lo, exec_lo, s12
	s_and_saveexec_b32 s9, s3
	s_cbranch_execz .LBB4_214
.LBB4_292:                              ;   in Loop: Header=BB4_36 Depth=1
	s_and_saveexec_b32 s10, s4
	s_delay_alu instid0(SALU_CYCLE_1)
	s_xor_b32 s10, exec_lo, s10
	s_cbranch_execz .LBB4_307
; %bb.293:                              ;   in Loop: Header=BB4_36 Depth=1
	s_and_saveexec_b32 s11, s5
	s_cbranch_execz .LBB4_306
; %bb.294:                              ;   in Loop: Header=BB4_36 Depth=1
	s_mov_b32 s20, exec_lo
	s_mov_b32 s12, exec_lo
	v_mbcnt_lo_u32_b32 v1, s20, 0
	global_wb scope:SCOPE_DEV
	s_wait_storecnt 0x0
	s_wait_loadcnt_dscnt 0x0
	global_inv scope:SCOPE_DEV
	v_cmpx_eq_u32_e32 0, v1
	s_cbranch_execz .LBB4_296
; %bb.295:                              ;   in Loop: Header=BB4_36 Depth=1
	s_bcnt1_i32_b32 s20, s20
	s_delay_alu instid0(SALU_CYCLE_1)
	v_mov_b32_e32 v52, s20
	s_wait_loadcnt 0x0
	ds_add_u64 v0, v[52:53]
	s_trap 2
.LBB4_296:                              ;   in Loop: Header=BB4_36 Depth=1
	s_or_b32 exec_lo, exec_lo, s12
	s_trap 2
	ds_load_b64 v[2:3], v0
	s_wait_dscnt 0x0
	v_add_nc_u64_e32 v[64:65], v[64:65], v[82:83]
	s_mov_b32 s12, exec_lo
	s_delay_alu instid0(VALU_DEP_1)
	v_cmpx_lt_u64_e64 v[2:3], v[64:65]
	s_cbranch_execz .LBB4_305
; %bb.297:                              ;   in Loop: Header=BB4_36 Depth=1
	s_mov_b32 s20, 0
	s_mov_b32 s23, 0
                                        ; implicit-def: $sgpr21
                                        ; implicit-def: $sgpr22
	s_branch .LBB4_299
.LBB4_298:                              ;   in Loop: Header=BB4_299 Depth=2
	s_or_b32 exec_lo, exec_lo, s25
	s_delay_alu instid0(SALU_CYCLE_1) | instskip(NEXT) | instid1(SALU_CYCLE_1)
	s_and_b32 s24, exec_lo, s26
	s_or_b32 s20, s24, s20
	s_and_not1_b32 s21, s21, exec_lo
	s_and_b32 s24, s22, exec_lo
	s_delay_alu instid0(SALU_CYCLE_1)
	s_or_b32 s21, s21, s24
	s_and_not1_b32 exec_lo, exec_lo, s20
	s_cbranch_execz .LBB4_303
.LBB4_299:                              ;   Parent Loop BB4_36 Depth=1
                                        ; =>  This Inner Loop Header: Depth=2
	s_add_co_i32 s23, s23, 1
	s_delay_alu instid0(SALU_CYCLE_1) | instskip(SKIP_1) | instid1(SALU_CYCLE_1)
	s_cmp_lg_u32 s23, 0x2710
	s_cselect_b32 s24, -1, 0
	s_and_b32 vcc_lo, exec_lo, s24
	s_cbranch_vccz .LBB4_301
; %bb.300:                              ;   in Loop: Header=BB4_299 Depth=2
	s_mov_b32 s26, -1
	s_or_b32 s22, s22, exec_lo
	s_and_saveexec_b32 s25, s24
	s_cbranch_execz .LBB4_298
	s_branch .LBB4_302
.LBB4_301:                              ;   in Loop: Header=BB4_299 Depth=2
	s_trap 2
	ds_load_b64 v[2:3], v0
	s_and_not1_b32 s24, s24, exec_lo
	s_mov_b32 s23, 0
	s_wait_loadcnt_dscnt 0x0
	flat_load_b32 v1, v[2:3] scope:SCOPE_SYS
	s_wait_loadcnt_dscnt 0x0
	global_inv scope:SCOPE_SYS
	v_cmp_eq_u32_e32 vcc_lo, 0, v1
	s_and_b32 s25, vcc_lo, exec_lo
	s_delay_alu instid0(SALU_CYCLE_1)
	s_or_b32 s24, s24, s25
	s_mov_b32 s26, -1
	s_or_b32 s22, s22, exec_lo
	s_and_saveexec_b32 s25, s24
	s_cbranch_execz .LBB4_298
.LBB4_302:                              ;   in Loop: Header=BB4_299 Depth=2
	s_sleep 1
	s_trap 2
	ds_load_b64 v[2:3], v0
	s_wait_dscnt 0x0
	s_and_not1_b32 s22, s22, exec_lo
	v_cmp_ge_u64_e32 vcc_lo, v[2:3], v[64:65]
	s_or_not1_b32 s26, vcc_lo, exec_lo
	s_branch .LBB4_298
.LBB4_303:                              ;   in Loop: Header=BB4_36 Depth=1
	s_or_b32 exec_lo, exec_lo, s20
	s_and_saveexec_b32 s20, s21
	s_delay_alu instid0(SALU_CYCLE_1)
	s_xor_b32 s20, exec_lo, s20
	s_cbranch_execz .LBB4_305
; %bb.304:                              ;   in Loop: Header=BB4_36 Depth=1
	ds_store_b32 v0, v60
	s_trap 2
.LBB4_305:                              ;   in Loop: Header=BB4_36 Depth=1
	s_or_b32 exec_lo, exec_lo, s12
	;;#ASMSTART
	s_wakeup
	;;#ASMEND
.LBB4_306:                              ;   in Loop: Header=BB4_36 Depth=1
	s_or_b32 exec_lo, exec_lo, s11
.LBB4_307:                              ;   in Loop: Header=BB4_36 Depth=1
	s_and_not1_saveexec_b32 s10, s10
	s_cbranch_execz .LBB4_309
; %bb.308:                              ;   in Loop: Header=BB4_36 Depth=1
	global_wb scope:SCOPE_DEV
	s_wait_storecnt 0x0
	s_wait_loadcnt_dscnt 0x0
	global_inv scope:SCOPE_DEV
	s_barrier_signal -1
	s_barrier_wait -1
.LBB4_309:                              ;   in Loop: Header=BB4_36 Depth=1
	s_or_b32 exec_lo, exec_lo, s10
	s_delay_alu instid0(SALU_CYCLE_1)
	s_or_b32 exec_lo, exec_lo, s9
	s_and_saveexec_b32 s9, s7
	s_cbranch_execz .LBB4_35
.LBB4_310:                              ;   in Loop: Header=BB4_36 Depth=1
	v_add_nc_u64_e32 v[38:39], 1, v[38:39]
	global_wb scope:SCOPE_SYS
	s_wait_storecnt 0x0
	s_wait_loadcnt_dscnt 0x0
	flat_store_b64 v[50:51], v[38:39] scope:SCOPE_SYS
	s_branch .LBB4_35
.LBB4_311:
	s_or_b32 exec_lo, exec_lo, s18
	s_delay_alu instid0(SALU_CYCLE_1)
	s_or_b32 exec_lo, exec_lo, s16
	s_and_saveexec_b32 s1, s13
	s_cbranch_execz .LBB4_20
.LBB4_312:
	s_wait_dscnt 0x0
	flat_store_b64 v[28:29], v[38:39] offset:104
	s_wait_xcnt 0x0
	s_or_b32 exec_lo, exec_lo, s1
	s_and_saveexec_b32 s1, s0
	s_cbranch_execnz .LBB4_21
	s_branch .LBB4_22
.LBB4_313:
	s_or_b32 exec_lo, exec_lo, s4
	s_and_saveexec_b32 s4, s5
	s_delay_alu instid0(SALU_CYCLE_1)
	s_xor_b32 s4, exec_lo, s4
	s_cbranch_execz .LBB4_315
; %bb.314:
	v_mov_b32_e32 v0, 1
	ds_store_b32 v0, v0
	s_trap 2
.LBB4_315:
	s_or_b32 exec_lo, exec_lo, s3
	;;#ASMSTART
	s_wakeup
	;;#ASMEND
.LBB4_316:
	s_or_b32 exec_lo, exec_lo, s2
.LBB4_317:
	s_and_not1_saveexec_b32 s1, s1
	s_cbranch_execz .LBB4_319
; %bb.318:
	global_wb scope:SCOPE_DEV
	s_wait_storecnt 0x0
	s_wait_loadcnt_dscnt 0x0
	global_inv scope:SCOPE_DEV
	s_barrier_signal -1
	s_barrier_wait -1
.LBB4_319:
	s_or_b32 exec_lo, exec_lo, s0
	s_clause 0x15
	scratch_load_b32 v77, off, s32
	scratch_load_b32 v76, off, s32 offset:4
	scratch_load_b32 v75, off, s32 offset:8
	;; [unrolled: 1-line block ×21, first 2 shown]
	s_wait_loadcnt_dscnt 0x0
	s_set_pc_i64 s[30:31]
.Lfunc_end4:
	.size	_ZN12_GLOBAL__N_17runRingI6__half10FuncMinMaxIS1_E7ProtoLLLi0ELi4ELi0EEEviiP15ncclDevWorkColl, .Lfunc_end4-_ZN12_GLOBAL__N_17runRingI6__half10FuncMinMaxIS1_E7ProtoLLLi0ELi4ELi0EEEviiP15ncclDevWorkColl
                                        ; -- End function
	.set .L_ZN12_GLOBAL__N_17runRingI6__half10FuncMinMaxIS1_E7ProtoLLLi0ELi4ELi0EEEviiP15ncclDevWorkColl.num_vgpr, 120
	.set .L_ZN12_GLOBAL__N_17runRingI6__half10FuncMinMaxIS1_E7ProtoLLLi0ELi4ELi0EEEviiP15ncclDevWorkColl.num_agpr, 0
	.set .L_ZN12_GLOBAL__N_17runRingI6__half10FuncMinMaxIS1_E7ProtoLLLi0ELi4ELi0EEEviiP15ncclDevWorkColl.numbered_sgpr, 41
	.set .L_ZN12_GLOBAL__N_17runRingI6__half10FuncMinMaxIS1_E7ProtoLLLi0ELi4ELi0EEEviiP15ncclDevWorkColl.num_named_barrier, 0
	.set .L_ZN12_GLOBAL__N_17runRingI6__half10FuncMinMaxIS1_E7ProtoLLLi0ELi4ELi0EEEviiP15ncclDevWorkColl.private_seg_size, 92
	.set .L_ZN12_GLOBAL__N_17runRingI6__half10FuncMinMaxIS1_E7ProtoLLLi0ELi4ELi0EEEviiP15ncclDevWorkColl.uses_vcc, 1
	.set .L_ZN12_GLOBAL__N_17runRingI6__half10FuncMinMaxIS1_E7ProtoLLLi0ELi4ELi0EEEviiP15ncclDevWorkColl.uses_flat_scratch, 1
	.set .L_ZN12_GLOBAL__N_17runRingI6__half10FuncMinMaxIS1_E7ProtoLLLi0ELi4ELi0EEEviiP15ncclDevWorkColl.has_dyn_sized_stack, 0
	.set .L_ZN12_GLOBAL__N_17runRingI6__half10FuncMinMaxIS1_E7ProtoLLLi0ELi4ELi0EEEviiP15ncclDevWorkColl.has_recursion, 0
	.set .L_ZN12_GLOBAL__N_17runRingI6__half10FuncMinMaxIS1_E7ProtoLLLi0ELi4ELi0EEEviiP15ncclDevWorkColl.has_indirect_call, 0
	.section	.AMDGPU.csdata,"",@progbits
; Function info:
; codeLenInByte = 10432
; TotalNumSgprs: 43
; NumVgprs: 120
; ScratchSize: 92
; MemoryBound: 0
	.text
	.p2align	2                               ; -- Begin function _Z50ncclDevFunc_ReduceScatter_RING_LL_MinMax_f16_0_0_4v
	.type	_Z50ncclDevFunc_ReduceScatter_RING_LL_MinMax_f16_0_0_4v,@function
_Z50ncclDevFunc_ReduceScatter_RING_LL_MinMax_f16_0_0_4v: ; @_Z50ncclDevFunc_ReduceScatter_RING_LL_MinMax_f16_0_0_4v
; %bb.0:
	s_wait_loadcnt_dscnt 0x0
	s_wait_kmcnt 0x0
	s_mov_b32 s56, s33
	s_mov_b32 s33, s32
	s_or_saveexec_b32 s0, -1
	scratch_store_b32 off, v41, s33 offset:4 ; 4-byte Folded Spill
	s_wait_xcnt 0x0
	s_mov_b32 exec_lo, s0
	s_add_co_i32 s32, s32, 16
	scratch_store_b32 off, v40, s33         ; 4-byte Folded Spill
	v_writelane_b32 v41, s30, 0
	v_writelane_b32 v41, s31, 1
	s_trap 2
	ds_load_b32 v0, v0
	s_wait_xcnt 0x0
	v_and_b32_e32 v40, 0x3ff, v31
	s_mov_b32 s41, s12
	s_mov_b64 s[42:43], s[8:9]
	s_mov_b32 s2, exec_lo
	s_wait_dscnt 0x0
	v_cmpx_lt_i32_e64 v40, v0
	s_cbranch_execz .LBB5_5
; %bb.1:
	s_load_b32 s0, s[42:43], 0x0
	s_bfe_u32 s1, ttmp6, 0x4000c
	s_and_b32 s3, ttmp6, 15
	s_add_co_i32 s1, s1, 1
	s_getreg_b32 s4, hwreg(HW_REG_IB_STS2, 6, 4)
	s_mul_i32 s1, ttmp9, s1
	v_mov_b32_e32 v2, v40
	s_add_co_i32 s3, s3, s1
	s_cmp_eq_u32 s4, 0
                                        ; implicit-def: $vgpr3
	s_cselect_b32 s1, ttmp9, s3
	s_mov_b32 s3, 0
	s_wait_kmcnt 0x0
	s_cmp_lt_u32 s1, s0
	s_mov_b32 s1, 0
	s_cselect_b32 s0, 12, 18
	s_delay_alu instid0(SALU_CYCLE_1)
	s_add_nc_u64 s[4:5], s[42:43], s[0:1]
	s_load_u16 s0, s[4:5], 0x0
	s_trap 2
	ds_load_b32 v1, v0
	s_wait_dscnt 0x0
	s_wait_kmcnt 0x0
	v_mul_lo_u32 v1, v1, s0
	s_branch .LBB5_3
.LBB5_2:                                ;   in Loop: Header=BB5_3 Depth=1
	s_or_b32 exec_lo, exec_lo, s4
	v_dual_add_nc_u32 v2, s0, v2 :: v_dual_add_nc_u32 v3, v3, v1
	s_delay_alu instid0(VALU_DEP_1) | instskip(SKIP_1) | instid1(SALU_CYCLE_1)
	v_cmp_ge_i32_e32 vcc_lo, v2, v0
	s_or_b32 s3, vcc_lo, s3
	s_and_not1_b32 exec_lo, exec_lo, s3
	s_cbranch_execz .LBB5_5
.LBB5_3:                                ; =>This Inner Loop Header: Depth=1
	ds_load_b32 v4, v3
	s_mov_b32 s4, exec_lo
	s_wait_dscnt 0x0
	v_and_b32_e32 v4, 0x1000000, v4
	s_delay_alu instid0(VALU_DEP_1)
	v_cmpx_ne_u32_e32 0, v4
	s_cbranch_execz .LBB5_2
; %bb.4:                                ;   in Loop: Header=BB5_3 Depth=1
	ds_load_b64 v[4:5], v3 offset:104
	s_wait_dscnt 0x0
	flat_load_u16 v4, v[4:5]
	s_wait_xcnt 0x0
	v_mov_b32_e32 v5, s1
	s_wait_loadcnt_dscnt 0x0
	v_and_b32_e32 v4, 0xffff, v4
	ds_store_b64 v3, v[4:5] offset:104
	s_branch .LBB5_2
.LBB5_5:
	s_or_b32 exec_lo, exec_lo, s2
	s_wait_storecnt_dscnt 0x0
	s_barrier_signal -1
	s_barrier_wait -1
	s_trap 2
	ds_load_b32 v0, v0
	s_wait_dscnt 0x0
	v_cmp_gt_i32_e32 vcc_lo, 1, v0
	s_cbranch_vccnz .LBB5_13
; %bb.6:
	s_mov_b32 s46, 0
	s_get_pc_i64 s[44:45]
	s_add_nc_u64 s[44:45], s[44:45], _ZN12_GLOBAL__N_17runRingI6__half10FuncMinMaxIS1_E7ProtoLLLi0ELi4ELi0EEEviiP15ncclDevWorkColl@rel64+4
	s_branch .LBB5_8
.LBB5_7:                                ;   in Loop: Header=BB5_8 Depth=1
	s_or_b32 exec_lo, exec_lo, s47
	s_trap 2
	ds_load_b32 v0, v0
	s_add_co_i32 s46, s46, 1
	s_wait_dscnt 0x0
	v_cmp_lt_i32_e32 vcc_lo, s46, v0
	s_cbranch_vccz .LBB5_13
.LBB5_8:                                ; =>This Inner Loop Header: Depth=1
	s_trap 2
	ds_load_b32 v0, v0
	s_cmp_eq_u32 s46, 0
	s_cbranch_scc1 .LBB5_11
; %bb.9:                                ;   in Loop: Header=BB5_8 Depth=1
	s_trap 2
	s_wait_dscnt 0x0
	ds_load_b32 v1, v0
	s_wait_dscnt 0x0
	v_xor_b32_e32 v1, v1, v0
	s_delay_alu instid0(VALU_DEP_1) | instskip(NEXT) | instid1(VALU_DEP_1)
	v_and_b32_e32 v1, 0xff0000, v1
	v_cmp_eq_u32_e32 vcc_lo, 0, v1
	s_cbranch_vccnz .LBB5_11
; %bb.10:                               ;   in Loop: Header=BB5_8 Depth=1
	s_barrier_signal -1
	s_barrier_wait -1
	ds_load_b32 v0, v0
.LBB5_11:                               ;   in Loop: Header=BB5_8 Depth=1
	s_wait_dscnt 0x0
	v_lshrrev_b32_e32 v0, 11, v0
	s_mov_b32 s47, exec_lo
	s_delay_alu instid0(VALU_DEP_1) | instskip(NEXT) | instid1(VALU_DEP_1)
	v_and_b32_e32 v1, 0x1fe0, v0
	v_cmpx_lt_u32_e64 v40, v1
	s_cbranch_execz .LBB5_7
; %bb.12:                               ;   in Loop: Header=BB5_8 Depth=1
	s_mov_b64 s[0:1], src_shared_base
	s_delay_alu instid0(SALU_CYCLE_1)
	v_dual_mov_b32 v0, v40 :: v_dual_mov_b32 v3, s1
	s_mov_b64 s[8:9], s[42:43]
	s_mov_b32 s12, s41
	s_swap_pc_i64 s[30:31], s[44:45]
	s_branch .LBB5_7
.LBB5_13:
	scratch_load_b32 v40, off, s33          ; 4-byte Folded Reload
	v_readlane_b32 s30, v41, 0
	v_readlane_b32 s31, v41, 1
	s_mov_b32 s32, s33
	s_wait_xcnt 0x0
	s_or_saveexec_b32 s0, -1
	scratch_load_b32 v41, off, s33 offset:4 ; 4-byte Folded Reload
	s_wait_xcnt 0x0
	s_mov_b32 exec_lo, s0
	s_mov_b32 s33, s56
	s_wait_loadcnt 0x0
	s_set_pc_i64 s[30:31]
.Lfunc_end5:
	.size	_Z50ncclDevFunc_ReduceScatter_RING_LL_MinMax_f16_0_0_4v, .Lfunc_end5-_Z50ncclDevFunc_ReduceScatter_RING_LL_MinMax_f16_0_0_4v
                                        ; -- End function
	.set .L_Z50ncclDevFunc_ReduceScatter_RING_LL_MinMax_f16_0_0_4v.num_vgpr, max(42, .L_ZN12_GLOBAL__N_17runRingI6__half10FuncMinMaxIS1_E7ProtoLLLi0ELi4ELi0EEEviiP15ncclDevWorkColl.num_vgpr)
	.set .L_Z50ncclDevFunc_ReduceScatter_RING_LL_MinMax_f16_0_0_4v.num_agpr, max(0, .L_ZN12_GLOBAL__N_17runRingI6__half10FuncMinMaxIS1_E7ProtoLLLi0ELi4ELi0EEEviiP15ncclDevWorkColl.num_agpr)
	.set .L_Z50ncclDevFunc_ReduceScatter_RING_LL_MinMax_f16_0_0_4v.numbered_sgpr, max(57, .L_ZN12_GLOBAL__N_17runRingI6__half10FuncMinMaxIS1_E7ProtoLLLi0ELi4ELi0EEEviiP15ncclDevWorkColl.numbered_sgpr)
	.set .L_Z50ncclDevFunc_ReduceScatter_RING_LL_MinMax_f16_0_0_4v.num_named_barrier, max(0, .L_ZN12_GLOBAL__N_17runRingI6__half10FuncMinMaxIS1_E7ProtoLLLi0ELi4ELi0EEEviiP15ncclDevWorkColl.num_named_barrier)
	.set .L_Z50ncclDevFunc_ReduceScatter_RING_LL_MinMax_f16_0_0_4v.private_seg_size, 16+max(.L_ZN12_GLOBAL__N_17runRingI6__half10FuncMinMaxIS1_E7ProtoLLLi0ELi4ELi0EEEviiP15ncclDevWorkColl.private_seg_size)
	.set .L_Z50ncclDevFunc_ReduceScatter_RING_LL_MinMax_f16_0_0_4v.uses_vcc, or(1, .L_ZN12_GLOBAL__N_17runRingI6__half10FuncMinMaxIS1_E7ProtoLLLi0ELi4ELi0EEEviiP15ncclDevWorkColl.uses_vcc)
	.set .L_Z50ncclDevFunc_ReduceScatter_RING_LL_MinMax_f16_0_0_4v.uses_flat_scratch, or(0, .L_ZN12_GLOBAL__N_17runRingI6__half10FuncMinMaxIS1_E7ProtoLLLi0ELi4ELi0EEEviiP15ncclDevWorkColl.uses_flat_scratch)
	.set .L_Z50ncclDevFunc_ReduceScatter_RING_LL_MinMax_f16_0_0_4v.has_dyn_sized_stack, or(0, .L_ZN12_GLOBAL__N_17runRingI6__half10FuncMinMaxIS1_E7ProtoLLLi0ELi4ELi0EEEviiP15ncclDevWorkColl.has_dyn_sized_stack)
	.set .L_Z50ncclDevFunc_ReduceScatter_RING_LL_MinMax_f16_0_0_4v.has_recursion, or(1, .L_ZN12_GLOBAL__N_17runRingI6__half10FuncMinMaxIS1_E7ProtoLLLi0ELi4ELi0EEEviiP15ncclDevWorkColl.has_recursion)
	.set .L_Z50ncclDevFunc_ReduceScatter_RING_LL_MinMax_f16_0_0_4v.has_indirect_call, or(0, .L_ZN12_GLOBAL__N_17runRingI6__half10FuncMinMaxIS1_E7ProtoLLLi0ELi4ELi0EEEviiP15ncclDevWorkColl.has_indirect_call)
	.section	.AMDGPU.csdata,"",@progbits
; Function info:
; codeLenInByte = 684
; TotalNumSgprs: 59
; NumVgprs: 120
; ScratchSize: 108
; MemoryBound: 0
	.text
	.p2alignl 7, 3214868480
	.fill 96, 4, 3214868480
	.section	.AMDGPU.gpr_maximums,"",@progbits
	.set amdgpu.max_num_vgpr, 120
	.set amdgpu.max_num_agpr, 0
	.set amdgpu.max_num_sgpr, 57
	.text
	.type	__hip_cuid_168bacb631f4f14a,@object ; @__hip_cuid_168bacb631f4f14a
	.section	.bss,"aw",@nobits
	.globl	__hip_cuid_168bacb631f4f14a
__hip_cuid_168bacb631f4f14a:
	.byte	0                               ; 0x0
	.size	__hip_cuid_168bacb631f4f14a, 1

	.ident	"AMD clang version 22.0.0git (https://github.com/RadeonOpenCompute/llvm-project roc-7.2.4 26084 f58b06dce1f9c15707c5f808fd002e18c2accf7e)"
	.section	".note.GNU-stack","",@progbits
	.addrsig
	.addrsig_sym _Z50ncclDevFunc_ReduceScatter_RING_LL_MinMax_f16_0_0_1v
	.addrsig_sym _Z50ncclDevFunc_ReduceScatter_RING_LL_MinMax_f16_0_0_2v
	.addrsig_sym _Z50ncclDevFunc_ReduceScatter_RING_LL_MinMax_f16_0_0_4v
	.addrsig_sym ncclShmem
	.addrsig_sym __hip_cuid_168bacb631f4f14a
	.amdgpu_metadata
---
amdhsa.kernels:  []
amdhsa.target:   amdgcn-amd-amdhsa--gfx1250
amdhsa.version:
  - 1
  - 2
...

	.end_amdgpu_metadata
